;; amdgpu-corpus repo=ROCm/rocFFT kind=compiled arch=gfx1201 opt=O3
	.text
	.amdgcn_target "amdgcn-amd-amdhsa--gfx1201"
	.amdhsa_code_object_version 6
	.protected	fft_rtc_fwd_len1666_factors_17_2_7_7_wgs_119_tpt_119_halfLds_dp_op_CI_CI_unitstride_sbrr_C2R_dirReg ; -- Begin function fft_rtc_fwd_len1666_factors_17_2_7_7_wgs_119_tpt_119_halfLds_dp_op_CI_CI_unitstride_sbrr_C2R_dirReg
	.globl	fft_rtc_fwd_len1666_factors_17_2_7_7_wgs_119_tpt_119_halfLds_dp_op_CI_CI_unitstride_sbrr_C2R_dirReg
	.p2align	8
	.type	fft_rtc_fwd_len1666_factors_17_2_7_7_wgs_119_tpt_119_halfLds_dp_op_CI_CI_unitstride_sbrr_C2R_dirReg,@function
fft_rtc_fwd_len1666_factors_17_2_7_7_wgs_119_tpt_119_halfLds_dp_op_CI_CI_unitstride_sbrr_C2R_dirReg: ; @fft_rtc_fwd_len1666_factors_17_2_7_7_wgs_119_tpt_119_halfLds_dp_op_CI_CI_unitstride_sbrr_C2R_dirReg
; %bb.0:
	s_clause 0x2
	s_load_b128 s[8:11], s[0:1], 0x0
	s_load_b128 s[4:7], s[0:1], 0x58
	;; [unrolled: 1-line block ×3, first 2 shown]
	v_mul_u32_u24_e32 v1, 0x227, v0
	v_mov_b32_e32 v3, 0
	s_delay_alu instid0(VALU_DEP_2) | instskip(NEXT) | instid1(VALU_DEP_1)
	v_lshrrev_b32_e32 v1, 16, v1
	v_add_nc_u32_e32 v5, ttmp9, v1
	v_mov_b32_e32 v1, 0
	v_mov_b32_e32 v2, 0
	;; [unrolled: 1-line block ×3, first 2 shown]
	s_wait_kmcnt 0x0
	v_cmp_lt_u64_e64 s2, s[10:11], 2
	s_delay_alu instid0(VALU_DEP_1)
	s_and_b32 vcc_lo, exec_lo, s2
	s_cbranch_vccnz .LBB0_8
; %bb.1:
	s_load_b64 s[2:3], s[0:1], 0x10
	v_mov_b32_e32 v1, 0
	v_mov_b32_e32 v2, 0
	s_add_nc_u64 s[16:17], s[14:15], 8
	s_add_nc_u64 s[18:19], s[12:13], 8
	s_mov_b64 s[20:21], 1
	s_delay_alu instid0(VALU_DEP_1)
	v_dual_mov_b32 v69, v2 :: v_dual_mov_b32 v68, v1
	s_wait_kmcnt 0x0
	s_add_nc_u64 s[22:23], s[2:3], 8
	s_mov_b32 s3, 0
.LBB0_2:                                ; =>This Inner Loop Header: Depth=1
	s_load_b64 s[24:25], s[22:23], 0x0
                                        ; implicit-def: $vgpr72_vgpr73
	s_mov_b32 s2, exec_lo
	s_wait_kmcnt 0x0
	v_or_b32_e32 v4, s25, v6
	s_delay_alu instid0(VALU_DEP_1)
	v_cmpx_ne_u64_e32 0, v[3:4]
	s_wait_alu 0xfffe
	s_xor_b32 s26, exec_lo, s2
	s_cbranch_execz .LBB0_4
; %bb.3:                                ;   in Loop: Header=BB0_2 Depth=1
	s_cvt_f32_u32 s2, s24
	s_cvt_f32_u32 s27, s25
	s_sub_nc_u64 s[30:31], 0, s[24:25]
	s_wait_alu 0xfffe
	s_delay_alu instid0(SALU_CYCLE_1) | instskip(SKIP_1) | instid1(SALU_CYCLE_2)
	s_fmamk_f32 s2, s27, 0x4f800000, s2
	s_wait_alu 0xfffe
	v_s_rcp_f32 s2, s2
	s_delay_alu instid0(TRANS32_DEP_1) | instskip(SKIP_1) | instid1(SALU_CYCLE_2)
	s_mul_f32 s2, s2, 0x5f7ffffc
	s_wait_alu 0xfffe
	s_mul_f32 s27, s2, 0x2f800000
	s_wait_alu 0xfffe
	s_delay_alu instid0(SALU_CYCLE_2) | instskip(SKIP_1) | instid1(SALU_CYCLE_2)
	s_trunc_f32 s27, s27
	s_wait_alu 0xfffe
	s_fmamk_f32 s2, s27, 0xcf800000, s2
	s_cvt_u32_f32 s29, s27
	s_wait_alu 0xfffe
	s_delay_alu instid0(SALU_CYCLE_1) | instskip(SKIP_1) | instid1(SALU_CYCLE_2)
	s_cvt_u32_f32 s28, s2
	s_wait_alu 0xfffe
	s_mul_u64 s[34:35], s[30:31], s[28:29]
	s_wait_alu 0xfffe
	s_mul_hi_u32 s37, s28, s35
	s_mul_i32 s36, s28, s35
	s_mul_hi_u32 s2, s28, s34
	s_mul_i32 s33, s29, s34
	s_wait_alu 0xfffe
	s_add_nc_u64 s[36:37], s[2:3], s[36:37]
	s_mul_hi_u32 s27, s29, s34
	s_mul_hi_u32 s38, s29, s35
	s_add_co_u32 s2, s36, s33
	s_wait_alu 0xfffe
	s_add_co_ci_u32 s2, s37, s27
	s_mul_i32 s34, s29, s35
	s_add_co_ci_u32 s35, s38, 0
	s_wait_alu 0xfffe
	s_add_nc_u64 s[34:35], s[2:3], s[34:35]
	s_wait_alu 0xfffe
	v_add_co_u32 v4, s2, s28, s34
	s_delay_alu instid0(VALU_DEP_1) | instskip(SKIP_1) | instid1(VALU_DEP_1)
	s_cmp_lg_u32 s2, 0
	s_add_co_ci_u32 s29, s29, s35
	v_readfirstlane_b32 s28, v4
	s_wait_alu 0xfffe
	s_delay_alu instid0(VALU_DEP_1)
	s_mul_u64 s[30:31], s[30:31], s[28:29]
	s_wait_alu 0xfffe
	s_mul_hi_u32 s35, s28, s31
	s_mul_i32 s34, s28, s31
	s_mul_hi_u32 s2, s28, s30
	s_mul_i32 s33, s29, s30
	s_wait_alu 0xfffe
	s_add_nc_u64 s[34:35], s[2:3], s[34:35]
	s_mul_hi_u32 s27, s29, s30
	s_mul_hi_u32 s28, s29, s31
	s_wait_alu 0xfffe
	s_add_co_u32 s2, s34, s33
	s_add_co_ci_u32 s2, s35, s27
	s_mul_i32 s30, s29, s31
	s_add_co_ci_u32 s31, s28, 0
	s_wait_alu 0xfffe
	s_add_nc_u64 s[30:31], s[2:3], s[30:31]
	s_wait_alu 0xfffe
	v_add_co_u32 v4, s2, v4, s30
	s_delay_alu instid0(VALU_DEP_1) | instskip(SKIP_1) | instid1(VALU_DEP_1)
	s_cmp_lg_u32 s2, 0
	s_add_co_ci_u32 s2, s29, s31
	v_mul_hi_u32 v13, v5, v4
	s_wait_alu 0xfffe
	v_mad_co_u64_u32 v[7:8], null, v5, s2, 0
	v_mad_co_u64_u32 v[9:10], null, v6, v4, 0
	;; [unrolled: 1-line block ×3, first 2 shown]
	s_delay_alu instid0(VALU_DEP_3) | instskip(SKIP_1) | instid1(VALU_DEP_4)
	v_add_co_u32 v4, vcc_lo, v13, v7
	s_wait_alu 0xfffd
	v_add_co_ci_u32_e32 v7, vcc_lo, 0, v8, vcc_lo
	s_delay_alu instid0(VALU_DEP_2) | instskip(SKIP_1) | instid1(VALU_DEP_2)
	v_add_co_u32 v4, vcc_lo, v4, v9
	s_wait_alu 0xfffd
	v_add_co_ci_u32_e32 v4, vcc_lo, v7, v10, vcc_lo
	s_wait_alu 0xfffd
	v_add_co_ci_u32_e32 v7, vcc_lo, 0, v12, vcc_lo
	s_delay_alu instid0(VALU_DEP_2) | instskip(SKIP_1) | instid1(VALU_DEP_2)
	v_add_co_u32 v4, vcc_lo, v4, v11
	s_wait_alu 0xfffd
	v_add_co_ci_u32_e32 v9, vcc_lo, 0, v7, vcc_lo
	s_delay_alu instid0(VALU_DEP_2) | instskip(SKIP_1) | instid1(VALU_DEP_3)
	v_mul_lo_u32 v10, s25, v4
	v_mad_co_u64_u32 v[7:8], null, s24, v4, 0
	v_mul_lo_u32 v11, s24, v9
	s_delay_alu instid0(VALU_DEP_2) | instskip(NEXT) | instid1(VALU_DEP_2)
	v_sub_co_u32 v7, vcc_lo, v5, v7
	v_add3_u32 v8, v8, v11, v10
	s_delay_alu instid0(VALU_DEP_1) | instskip(SKIP_1) | instid1(VALU_DEP_1)
	v_sub_nc_u32_e32 v10, v6, v8
	s_wait_alu 0xfffd
	v_subrev_co_ci_u32_e64 v10, s2, s25, v10, vcc_lo
	v_add_co_u32 v11, s2, v4, 2
	s_wait_alu 0xf1ff
	v_add_co_ci_u32_e64 v12, s2, 0, v9, s2
	v_sub_co_u32 v13, s2, v7, s24
	v_sub_co_ci_u32_e32 v8, vcc_lo, v6, v8, vcc_lo
	s_wait_alu 0xf1ff
	v_subrev_co_ci_u32_e64 v10, s2, 0, v10, s2
	s_delay_alu instid0(VALU_DEP_3) | instskip(NEXT) | instid1(VALU_DEP_3)
	v_cmp_le_u32_e32 vcc_lo, s24, v13
	v_cmp_eq_u32_e64 s2, s25, v8
	s_wait_alu 0xfffd
	v_cndmask_b32_e64 v13, 0, -1, vcc_lo
	v_cmp_le_u32_e32 vcc_lo, s25, v10
	s_wait_alu 0xfffd
	v_cndmask_b32_e64 v14, 0, -1, vcc_lo
	v_cmp_le_u32_e32 vcc_lo, s24, v7
	;; [unrolled: 3-line block ×3, first 2 shown]
	s_wait_alu 0xfffd
	v_cndmask_b32_e64 v15, 0, -1, vcc_lo
	v_cmp_eq_u32_e32 vcc_lo, s25, v10
	s_wait_alu 0xf1ff
	s_delay_alu instid0(VALU_DEP_2)
	v_cndmask_b32_e64 v7, v15, v7, s2
	s_wait_alu 0xfffd
	v_cndmask_b32_e32 v10, v14, v13, vcc_lo
	v_add_co_u32 v13, vcc_lo, v4, 1
	s_wait_alu 0xfffd
	v_add_co_ci_u32_e32 v14, vcc_lo, 0, v9, vcc_lo
	s_delay_alu instid0(VALU_DEP_3) | instskip(SKIP_1) | instid1(VALU_DEP_2)
	v_cmp_ne_u32_e32 vcc_lo, 0, v10
	s_wait_alu 0xfffd
	v_cndmask_b32_e32 v8, v14, v12, vcc_lo
	v_cndmask_b32_e32 v10, v13, v11, vcc_lo
	v_cmp_ne_u32_e32 vcc_lo, 0, v7
	s_wait_alu 0xfffd
	s_delay_alu instid0(VALU_DEP_2)
	v_dual_cndmask_b32 v73, v9, v8 :: v_dual_cndmask_b32 v72, v4, v10
.LBB0_4:                                ;   in Loop: Header=BB0_2 Depth=1
	s_wait_alu 0xfffe
	s_and_not1_saveexec_b32 s2, s26
	s_cbranch_execz .LBB0_6
; %bb.5:                                ;   in Loop: Header=BB0_2 Depth=1
	v_cvt_f32_u32_e32 v4, s24
	s_sub_co_i32 s26, 0, s24
	v_mov_b32_e32 v73, v3
	s_delay_alu instid0(VALU_DEP_2) | instskip(NEXT) | instid1(TRANS32_DEP_1)
	v_rcp_iflag_f32_e32 v4, v4
	v_mul_f32_e32 v4, 0x4f7ffffe, v4
	s_delay_alu instid0(VALU_DEP_1) | instskip(SKIP_1) | instid1(VALU_DEP_1)
	v_cvt_u32_f32_e32 v4, v4
	s_wait_alu 0xfffe
	v_mul_lo_u32 v7, s26, v4
	s_delay_alu instid0(VALU_DEP_1) | instskip(NEXT) | instid1(VALU_DEP_1)
	v_mul_hi_u32 v7, v4, v7
	v_add_nc_u32_e32 v4, v4, v7
	s_delay_alu instid0(VALU_DEP_1) | instskip(NEXT) | instid1(VALU_DEP_1)
	v_mul_hi_u32 v4, v5, v4
	v_mul_lo_u32 v7, v4, s24
	v_add_nc_u32_e32 v8, 1, v4
	s_delay_alu instid0(VALU_DEP_2) | instskip(NEXT) | instid1(VALU_DEP_1)
	v_sub_nc_u32_e32 v7, v5, v7
	v_subrev_nc_u32_e32 v9, s24, v7
	v_cmp_le_u32_e32 vcc_lo, s24, v7
	s_wait_alu 0xfffd
	s_delay_alu instid0(VALU_DEP_2) | instskip(NEXT) | instid1(VALU_DEP_1)
	v_dual_cndmask_b32 v7, v7, v9 :: v_dual_cndmask_b32 v4, v4, v8
	v_cmp_le_u32_e32 vcc_lo, s24, v7
	s_delay_alu instid0(VALU_DEP_2) | instskip(SKIP_1) | instid1(VALU_DEP_1)
	v_add_nc_u32_e32 v8, 1, v4
	s_wait_alu 0xfffd
	v_cndmask_b32_e32 v72, v4, v8, vcc_lo
.LBB0_6:                                ;   in Loop: Header=BB0_2 Depth=1
	s_wait_alu 0xfffe
	s_or_b32 exec_lo, exec_lo, s2
	v_mul_lo_u32 v4, v73, s24
	s_delay_alu instid0(VALU_DEP_2)
	v_mul_lo_u32 v9, v72, s25
	s_load_b64 s[26:27], s[18:19], 0x0
	v_mad_co_u64_u32 v[7:8], null, v72, s24, 0
	s_load_b64 s[24:25], s[16:17], 0x0
	s_add_nc_u64 s[20:21], s[20:21], 1
	s_add_nc_u64 s[16:17], s[16:17], 8
	s_wait_alu 0xfffe
	v_cmp_ge_u64_e64 s2, s[20:21], s[10:11]
	s_add_nc_u64 s[18:19], s[18:19], 8
	s_add_nc_u64 s[22:23], s[22:23], 8
	v_add3_u32 v4, v8, v9, v4
	v_sub_co_u32 v5, vcc_lo, v5, v7
	s_wait_alu 0xfffd
	s_delay_alu instid0(VALU_DEP_2) | instskip(SKIP_2) | instid1(VALU_DEP_1)
	v_sub_co_ci_u32_e32 v4, vcc_lo, v6, v4, vcc_lo
	s_and_b32 vcc_lo, exec_lo, s2
	s_wait_kmcnt 0x0
	v_mul_lo_u32 v6, s26, v4
	v_mul_lo_u32 v7, s27, v5
	v_mad_co_u64_u32 v[1:2], null, s26, v5, v[1:2]
	v_mul_lo_u32 v4, s24, v4
	v_mul_lo_u32 v8, s25, v5
	v_mad_co_u64_u32 v[68:69], null, s24, v5, v[68:69]
	s_delay_alu instid0(VALU_DEP_4) | instskip(NEXT) | instid1(VALU_DEP_2)
	v_add3_u32 v2, v7, v2, v6
	v_add3_u32 v69, v8, v69, v4
	s_wait_alu 0xfffe
	s_cbranch_vccnz .LBB0_9
; %bb.7:                                ;   in Loop: Header=BB0_2 Depth=1
	v_dual_mov_b32 v5, v72 :: v_dual_mov_b32 v6, v73
	s_branch .LBB0_2
.LBB0_8:
	v_dual_mov_b32 v69, v2 :: v_dual_mov_b32 v68, v1
	v_dual_mov_b32 v73, v6 :: v_dual_mov_b32 v72, v5
.LBB0_9:
	s_load_b64 s[0:1], s[0:1], 0x28
	v_mul_hi_u32 v3, 0x226b903, v0
	s_lshl_b64 s[10:11], s[10:11], 3
                                        ; implicit-def: $vgpr70
	s_wait_alu 0xfffe
	s_add_nc_u64 s[2:3], s[14:15], s[10:11]
	s_wait_kmcnt 0x0
	v_cmp_gt_u64_e32 vcc_lo, s[0:1], v[72:73]
	v_cmp_le_u64_e64 s0, s[0:1], v[72:73]
	s_delay_alu instid0(VALU_DEP_1)
	s_and_saveexec_b32 s1, s0
	s_wait_alu 0xfffe
	s_xor_b32 s0, exec_lo, s1
; %bb.10:
	v_mul_u32_u24_e32 v1, 0x77, v3
                                        ; implicit-def: $vgpr3
	s_delay_alu instid0(VALU_DEP_1)
	v_sub_nc_u32_e32 v70, v0, v1
                                        ; implicit-def: $vgpr0
                                        ; implicit-def: $vgpr1_vgpr2
; %bb.11:
	s_wait_alu 0xfffe
	s_or_saveexec_b32 s1, s0
	s_load_b64 s[2:3], s[2:3], 0x0
	s_xor_b32 exec_lo, exec_lo, s1
	s_cbranch_execz .LBB0_15
; %bb.12:
	s_add_nc_u64 s[10:11], s[12:13], s[10:11]
	v_lshlrev_b64_e32 v[1:2], 4, v[1:2]
	s_load_b64 s[10:11], s[10:11], 0x0
	s_wait_kmcnt 0x0
	v_mul_lo_u32 v6, s11, v72
	v_mul_lo_u32 v7, s10, v73
	v_mad_co_u64_u32 v[4:5], null, s10, v72, 0
	s_delay_alu instid0(VALU_DEP_1) | instskip(SKIP_1) | instid1(VALU_DEP_2)
	v_add3_u32 v5, v5, v7, v6
	v_mul_u32_u24_e32 v6, 0x77, v3
	v_lshlrev_b64_e32 v[3:4], 4, v[4:5]
	s_delay_alu instid0(VALU_DEP_2) | instskip(NEXT) | instid1(VALU_DEP_1)
	v_sub_nc_u32_e32 v70, v0, v6
	v_lshlrev_b32_e32 v58, 4, v70
	s_delay_alu instid0(VALU_DEP_3) | instskip(SKIP_1) | instid1(VALU_DEP_4)
	v_add_co_u32 v0, s0, s4, v3
	s_wait_alu 0xf1ff
	v_add_co_ci_u32_e64 v3, s0, s5, v4, s0
	s_mov_b32 s4, exec_lo
	s_delay_alu instid0(VALU_DEP_2) | instskip(SKIP_1) | instid1(VALU_DEP_2)
	v_add_co_u32 v0, s0, v0, v1
	s_wait_alu 0xf1ff
	v_add_co_ci_u32_e64 v1, s0, v3, v2, s0
	s_delay_alu instid0(VALU_DEP_2) | instskip(SKIP_1) | instid1(VALU_DEP_2)
	v_add_co_u32 v54, s0, v0, v58
	s_wait_alu 0xf1ff
	v_add_co_ci_u32_e64 v55, s0, 0, v1, s0
	s_clause 0xd
	global_load_b128 v[2:5], v[54:55], off
	global_load_b128 v[6:9], v[54:55], off offset:1904
	global_load_b128 v[10:13], v[54:55], off offset:3808
	global_load_b128 v[14:17], v[54:55], off offset:5712
	global_load_b128 v[18:21], v[54:55], off offset:7616
	global_load_b128 v[22:25], v[54:55], off offset:9520
	global_load_b128 v[26:29], v[54:55], off offset:11424
	global_load_b128 v[30:33], v[54:55], off offset:13328
	global_load_b128 v[34:37], v[54:55], off offset:15232
	global_load_b128 v[38:41], v[54:55], off offset:17136
	global_load_b128 v[42:45], v[54:55], off offset:19040
	global_load_b128 v[46:49], v[54:55], off offset:20944
	global_load_b128 v[50:53], v[54:55], off offset:22848
	global_load_b128 v[54:57], v[54:55], off offset:24752
	v_add_nc_u32_e32 v58, 0, v58
	s_wait_loadcnt 0xd
	ds_store_b128 v58, v[2:5]
	s_wait_loadcnt 0xc
	ds_store_b128 v58, v[6:9] offset:1904
	s_wait_loadcnt 0xb
	ds_store_b128 v58, v[10:13] offset:3808
	;; [unrolled: 2-line block ×13, first 2 shown]
	v_cmpx_eq_u32_e32 0x76, v70
	s_cbranch_execz .LBB0_14
; %bb.13:
	global_load_b128 v[0:3], v[0:1], off offset:26656
	v_mov_b32_e32 v4, 0
	v_mov_b32_e32 v70, 0x76
	s_wait_loadcnt 0x0
	ds_store_b128 v4, v[0:3] offset:26656
.LBB0_14:
	s_wait_alu 0xfffe
	s_or_b32 exec_lo, exec_lo, s4
.LBB0_15:
	s_delay_alu instid0(SALU_CYCLE_1)
	s_or_b32 exec_lo, exec_lo, s1
	v_lshlrev_b32_e32 v0, 4, v70
	global_wb scope:SCOPE_SE
	s_wait_dscnt 0x0
	s_wait_kmcnt 0x0
	s_barrier_signal -1
	s_barrier_wait -1
	global_inv scope:SCOPE_SE
	v_add_nc_u32_e32 v148, 0, v0
	v_sub_nc_u32_e32 v10, 0, v0
	s_mov_b32 s1, exec_lo
                                        ; implicit-def: $vgpr4_vgpr5
	ds_load_b64 v[6:7], v148
	ds_load_b64 v[8:9], v10 offset:26656
	s_wait_dscnt 0x0
	v_add_f64_e32 v[0:1], v[6:7], v[8:9]
	v_add_f64_e64 v[2:3], v[6:7], -v[8:9]
	v_cmpx_ne_u32_e32 0, v70
	s_wait_alu 0xfffe
	s_xor_b32 s1, exec_lo, s1
	s_cbranch_execz .LBB0_17
; %bb.16:
	v_mov_b32_e32 v71, 0
	v_add_f64_e32 v[13:14], v[6:7], v[8:9]
	v_add_f64_e64 v[15:16], v[6:7], -v[8:9]
	s_delay_alu instid0(VALU_DEP_3) | instskip(NEXT) | instid1(VALU_DEP_1)
	v_lshlrev_b64_e32 v[0:1], 4, v[70:71]
	v_add_co_u32 v0, s0, s8, v0
	s_wait_alu 0xf1ff
	s_delay_alu instid0(VALU_DEP_2)
	v_add_co_ci_u32_e64 v1, s0, s9, v1, s0
	global_load_b128 v[2:5], v[0:1], off offset:26384
	ds_load_b64 v[0:1], v10 offset:26664
	ds_load_b64 v[11:12], v148 offset:8
	s_wait_dscnt 0x0
	v_add_f64_e32 v[6:7], v[0:1], v[11:12]
	v_add_f64_e64 v[0:1], v[11:12], -v[0:1]
	s_wait_loadcnt 0x0
	v_fma_f64 v[8:9], v[15:16], v[4:5], v[13:14]
	v_fma_f64 v[11:12], -v[15:16], v[4:5], v[13:14]
	s_delay_alu instid0(VALU_DEP_3) | instskip(SKIP_1) | instid1(VALU_DEP_4)
	v_fma_f64 v[13:14], v[6:7], v[4:5], -v[0:1]
	v_fma_f64 v[4:5], v[6:7], v[4:5], v[0:1]
	v_fma_f64 v[0:1], -v[6:7], v[2:3], v[8:9]
	s_delay_alu instid0(VALU_DEP_4) | instskip(NEXT) | instid1(VALU_DEP_4)
	v_fma_f64 v[6:7], v[6:7], v[2:3], v[11:12]
	v_fma_f64 v[8:9], v[15:16], v[2:3], v[13:14]
	s_delay_alu instid0(VALU_DEP_4)
	v_fma_f64 v[2:3], v[15:16], v[2:3], v[4:5]
	v_dual_mov_b32 v4, v70 :: v_dual_mov_b32 v5, v71
	ds_store_b128 v10, v[6:9] offset:26656
.LBB0_17:
	s_wait_alu 0xfffe
	s_and_not1_saveexec_b32 s0, s1
	s_cbranch_execz .LBB0_19
; %bb.18:
	v_mov_b32_e32 v8, 0
	ds_load_b128 v[4:7], v8 offset:13328
	s_wait_dscnt 0x0
	v_add_f64_e32 v[11:12], v[4:5], v[4:5]
	v_mul_f64_e32 v[13:14], -2.0, v[6:7]
	v_mov_b32_e32 v4, 0
	v_mov_b32_e32 v5, 0
	ds_store_b128 v8, v[11:14] offset:13328
.LBB0_19:
	s_wait_alu 0xfffe
	s_or_b32 exec_lo, exec_lo, s0
	v_lshlrev_b64_e32 v[4:5], 4, v[4:5]
	s_add_nc_u64 s[0:1], s[8:9], 0x6710
	s_mov_b32 s33, exec_lo
	s_wait_alu 0xfffe
	s_delay_alu instid0(VALU_DEP_1)
	v_add_co_u32 v23, s0, s0, v4
	s_wait_alu 0xf1ff
	v_add_co_ci_u32_e64 v24, s0, s1, v5, s0
	s_clause 0x1
	global_load_b128 v[4:7], v[23:24], off offset:1904
	global_load_b128 v[11:14], v[23:24], off offset:3808
	ds_store_b128 v148, v[0:3]
	ds_load_b128 v[0:3], v148 offset:1904
	ds_load_b128 v[15:18], v10 offset:24752
	global_load_b128 v[19:22], v[23:24], off offset:5712
	s_wait_dscnt 0x0
	v_add_f64_e32 v[8:9], v[0:1], v[15:16]
	v_add_f64_e32 v[25:26], v[17:18], v[2:3]
	v_add_f64_e64 v[15:16], v[0:1], -v[15:16]
	v_add_f64_e64 v[0:1], v[2:3], -v[17:18]
	s_wait_loadcnt 0x2
	s_delay_alu instid0(VALU_DEP_2) | instskip(NEXT) | instid1(VALU_DEP_2)
	v_fma_f64 v[2:3], v[15:16], v[6:7], v[8:9]
	v_fma_f64 v[17:18], v[25:26], v[6:7], v[0:1]
	v_fma_f64 v[8:9], -v[15:16], v[6:7], v[8:9]
	v_fma_f64 v[27:28], v[25:26], v[6:7], -v[0:1]
	s_delay_alu instid0(VALU_DEP_4) | instskip(NEXT) | instid1(VALU_DEP_4)
	v_fma_f64 v[0:1], -v[25:26], v[4:5], v[2:3]
	v_fma_f64 v[2:3], v[15:16], v[4:5], v[17:18]
	s_delay_alu instid0(VALU_DEP_4) | instskip(NEXT) | instid1(VALU_DEP_4)
	v_fma_f64 v[6:7], v[25:26], v[4:5], v[8:9]
	v_fma_f64 v[8:9], v[15:16], v[4:5], v[27:28]
	ds_store_b128 v148, v[0:3] offset:1904
	ds_store_b128 v10, v[6:9] offset:24752
	ds_load_b128 v[0:3], v148 offset:3808
	ds_load_b128 v[4:7], v10 offset:22848
	global_load_b128 v[15:18], v[23:24], off offset:7616
	s_wait_dscnt 0x0
	v_add_f64_e32 v[8:9], v[0:1], v[4:5]
	v_add_f64_e32 v[25:26], v[6:7], v[2:3]
	v_add_f64_e64 v[27:28], v[0:1], -v[4:5]
	v_add_f64_e64 v[0:1], v[2:3], -v[6:7]
	s_wait_loadcnt 0x2
	s_delay_alu instid0(VALU_DEP_2) | instskip(NEXT) | instid1(VALU_DEP_2)
	v_fma_f64 v[2:3], v[27:28], v[13:14], v[8:9]
	v_fma_f64 v[4:5], v[25:26], v[13:14], v[0:1]
	v_fma_f64 v[6:7], -v[27:28], v[13:14], v[8:9]
	v_fma_f64 v[8:9], v[25:26], v[13:14], -v[0:1]
	s_delay_alu instid0(VALU_DEP_4) | instskip(NEXT) | instid1(VALU_DEP_4)
	v_fma_f64 v[0:1], -v[25:26], v[11:12], v[2:3]
	v_fma_f64 v[2:3], v[27:28], v[11:12], v[4:5]
	s_delay_alu instid0(VALU_DEP_4) | instskip(NEXT) | instid1(VALU_DEP_4)
	v_fma_f64 v[4:5], v[25:26], v[11:12], v[6:7]
	v_fma_f64 v[6:7], v[27:28], v[11:12], v[8:9]
	ds_store_b128 v148, v[0:3] offset:3808
	ds_store_b128 v10, v[4:7] offset:22848
	;; [unrolled: 22-line block ×4, first 2 shown]
	ds_load_b128 v[0:3], v148 offset:9520
	ds_load_b128 v[4:7], v10 offset:17136
	s_wait_dscnt 0x0
	v_add_f64_e32 v[8:9], v[0:1], v[4:5]
	v_add_f64_e32 v[15:16], v[6:7], v[2:3]
	v_add_f64_e64 v[17:18], v[0:1], -v[4:5]
	v_add_f64_e64 v[0:1], v[2:3], -v[6:7]
	s_wait_loadcnt 0x1
	s_delay_alu instid0(VALU_DEP_2) | instskip(NEXT) | instid1(VALU_DEP_2)
	v_fma_f64 v[2:3], v[17:18], v[13:14], v[8:9]
	v_fma_f64 v[4:5], v[15:16], v[13:14], v[0:1]
	v_fma_f64 v[6:7], -v[17:18], v[13:14], v[8:9]
	v_fma_f64 v[8:9], v[15:16], v[13:14], -v[0:1]
	s_delay_alu instid0(VALU_DEP_4) | instskip(NEXT) | instid1(VALU_DEP_4)
	v_fma_f64 v[0:1], -v[15:16], v[11:12], v[2:3]
	v_fma_f64 v[2:3], v[17:18], v[11:12], v[4:5]
	s_delay_alu instid0(VALU_DEP_4) | instskip(NEXT) | instid1(VALU_DEP_4)
	v_fma_f64 v[4:5], v[15:16], v[11:12], v[6:7]
	v_fma_f64 v[6:7], v[17:18], v[11:12], v[8:9]
	ds_store_b128 v148, v[0:3] offset:9520
	ds_store_b128 v10, v[4:7] offset:17136
	ds_load_b128 v[0:3], v148 offset:11424
	ds_load_b128 v[4:7], v10 offset:15232
	s_wait_dscnt 0x0
	v_add_f64_e32 v[8:9], v[0:1], v[4:5]
	v_add_f64_e32 v[11:12], v[6:7], v[2:3]
	v_add_f64_e64 v[13:14], v[0:1], -v[4:5]
	v_add_f64_e64 v[0:1], v[2:3], -v[6:7]
	s_wait_loadcnt 0x0
	s_delay_alu instid0(VALU_DEP_2) | instskip(NEXT) | instid1(VALU_DEP_2)
	v_fma_f64 v[2:3], v[13:14], v[21:22], v[8:9]
	v_fma_f64 v[4:5], v[11:12], v[21:22], v[0:1]
	v_fma_f64 v[6:7], -v[13:14], v[21:22], v[8:9]
	v_fma_f64 v[8:9], v[11:12], v[21:22], -v[0:1]
	s_delay_alu instid0(VALU_DEP_4) | instskip(NEXT) | instid1(VALU_DEP_4)
	v_fma_f64 v[0:1], -v[11:12], v[19:20], v[2:3]
	v_fma_f64 v[2:3], v[13:14], v[19:20], v[4:5]
	s_delay_alu instid0(VALU_DEP_4) | instskip(NEXT) | instid1(VALU_DEP_4)
	v_fma_f64 v[4:5], v[11:12], v[19:20], v[6:7]
	v_fma_f64 v[6:7], v[13:14], v[19:20], v[8:9]
	ds_store_b128 v148, v[0:3] offset:11424
	ds_store_b128 v10, v[4:7] offset:15232
	global_wb scope:SCOPE_SE
	s_wait_dscnt 0x0
	s_barrier_signal -1
	s_barrier_wait -1
	global_inv scope:SCOPE_SE
	global_wb scope:SCOPE_SE
	s_barrier_signal -1
	s_barrier_wait -1
	global_inv scope:SCOPE_SE
	ds_load_b128 v[8:11], v148
	ds_load_b128 v[36:39], v148 offset:1568
	ds_load_b128 v[40:43], v148 offset:3136
	;; [unrolled: 1-line block ×16, first 2 shown]
	global_wb scope:SCOPE_SE
	s_wait_dscnt 0x0
	s_barrier_signal -1
	s_barrier_wait -1
	global_inv scope:SCOPE_SE
	v_cmpx_gt_u32_e32 0x62, v70
	s_cbranch_execz .LBB0_21
; %bb.20:
	v_add_f64_e32 v[74:75], v[10:11], v[38:39]
	v_add_f64_e32 v[76:77], v[8:9], v[36:37]
	;; [unrolled: 1-line block ×3, first 2 shown]
	v_add_f64_e64 v[120:121], v[38:39], -v[2:3]
	s_mov_b32 s22, 0x7c9e640b
	s_mov_b32 s0, 0x6ed5f1bb
	;; [unrolled: 1-line block ×14, first 2 shown]
	s_wait_alu 0xfffe
	s_mov_b32 s44, s10
	s_mov_b32 s40, s30
	v_add_f64_e32 v[149:150], v[42:43], v[6:7]
	v_add_f64_e64 v[146:147], v[42:43], -v[6:7]
	s_mov_b32 s4, 0x75d4884
	s_mov_b32 s5, 0x3fe7a5f6
	v_add_f64_e32 v[80:81], v[62:63], v[34:35]
	v_add_f64_e64 v[82:83], v[62:63], -v[34:35]
	s_mov_b32 s16, 0x3259b75e
	s_mov_b32 s34, 0xeb564b22
	;; [unrolled: 1-line block ×12, first 2 shown]
	v_add_f64_e32 v[74:75], v[74:75], v[42:43]
	v_add_f64_e32 v[76:77], v[76:77], v[40:41]
	v_mul_f64_e32 v[108:109], s[14:15], v[106:107]
	v_mul_f64_e32 v[104:105], s[12:13], v[106:107]
	;; [unrolled: 1-line block ×5, first 2 shown]
	s_mov_b32 s53, 0x3feec746
	s_mov_b32 s19, 0x3fdc86fa
	;; [unrolled: 1-line block ×11, first 2 shown]
	s_wait_alu 0xfffe
	s_mov_b32 s36, s24
	v_add_f64_e32 v[86:87], v[66:67], v[30:31]
	v_add_f64_e32 v[144:145], v[46:47], v[14:15]
	v_mul_f64_e32 v[42:43], s[16:17], v[106:107]
	v_mul_f64_e32 v[38:39], s[18:19], v[106:107]
	;; [unrolled: 1-line block ×11, first 2 shown]
	s_mov_b32 s43, 0x3fe58eea
	s_mov_b32 s42, s28
	v_add_f64_e32 v[90:91], v[58:59], v[26:27]
	v_add_f64_e64 v[84:85], v[56:57], -v[24:25]
	v_mul_f64_e32 v[175:176], s[16:17], v[149:150]
	s_mov_b32 s51, 0x3fefdd0d
	v_add_f64_e32 v[74:75], v[74:75], v[46:47]
	v_add_f64_e32 v[76:77], v[76:77], v[44:45]
	v_add_f64_e64 v[46:47], v[46:47], -v[14:15]
	s_mov_b32 s39, 0x3fd71e95
	s_mov_b32 s50, s34
	;; [unrolled: 1-line block ×3, first 2 shown]
	v_add_f64_e32 v[96:97], v[50:51], v[18:19]
	v_mul_f64_e32 v[155:156], s[12:13], v[149:150]
	v_mul_f64_e32 v[163:164], s[14:15], v[149:150]
	;; [unrolled: 1-line block ×4, first 2 shown]
	v_add_f64_e64 v[78:79], v[64:65], -v[28:29]
	v_add_f64_e32 v[94:95], v[54:55], v[22:23]
	v_add_f64_e64 v[88:89], v[52:53], -v[20:21]
	v_mul_f64_e32 v[128:129], s[38:39], v[146:147]
	v_mul_f64_e32 v[157:158], s[30:31], v[146:147]
	;; [unrolled: 1-line block ×4, first 2 shown]
	v_add_f64_e64 v[92:93], v[48:49], -v[16:17]
	v_lshl_add_u32 v71, v70, 8, v148
	v_mul_f64_e32 v[130:131], s[12:13], v[144:145]
	v_mul_f64_e32 v[138:139], s[16:17], v[144:145]
	;; [unrolled: 1-line block ×6, first 2 shown]
	v_add_f64_e32 v[74:75], v[74:75], v[50:51]
	v_add_f64_e32 v[76:77], v[76:77], v[48:49]
	v_add_f64_e64 v[50:51], v[50:51], -v[18:19]
	v_mul_f64_e32 v[132:133], s[34:35], v[46:47]
	v_add_f64_e32 v[48:49], v[48:49], v[16:17]
	v_mul_f64_e32 v[161:162], s[42:43], v[46:47]
	v_mul_f64_e32 v[187:188], s[4:5], v[96:97]
	;; [unrolled: 1-line block ×5, first 2 shown]
	v_add_f64_e32 v[74:75], v[74:75], v[54:55]
	v_add_f64_e32 v[76:77], v[76:77], v[52:53]
	;; [unrolled: 1-line block ×3, first 2 shown]
	v_add_f64_e64 v[54:55], v[54:55], -v[22:23]
	s_delay_alu instid0(VALU_DEP_4) | instskip(NEXT) | instid1(VALU_DEP_4)
	v_add_f64_e32 v[74:75], v[74:75], v[58:59]
	v_add_f64_e32 v[76:77], v[76:77], v[56:57]
	;; [unrolled: 1-line block ×3, first 2 shown]
	v_add_f64_e64 v[58:59], v[58:59], -v[26:27]
	s_delay_alu instid0(VALU_DEP_4) | instskip(NEXT) | instid1(VALU_DEP_4)
	v_add_f64_e32 v[98:99], v[74:75], v[66:67]
	v_add_f64_e32 v[100:101], v[76:77], v[64:65]
	v_add_f64_e64 v[74:75], v[60:61], -v[32:33]
	v_add_f64_e32 v[76:77], v[60:61], v[32:33]
	v_add_f64_e64 v[66:67], v[66:67], -v[30:31]
	v_add_f64_e32 v[64:65], v[64:65], v[28:29]
	v_add_f64_e32 v[102:103], v[98:99], v[62:63]
	;; [unrolled: 1-line block ×3, first 2 shown]
	v_add_f64_e64 v[98:99], v[36:37], -v[0:1]
	v_add_f64_e32 v[36:37], v[36:37], v[0:1]
	v_add_f64_e64 v[62:63], v[40:41], -v[4:5]
	v_add_f64_e32 v[40:41], v[40:41], v[4:5]
	;; [unrolled: 2-line block ×3, first 2 shown]
	v_add_f64_e32 v[142:143], v[102:103], v[34:35]
	v_add_f64_e32 v[151:152], v[100:101], v[32:33]
	v_mul_f64_e32 v[102:103], s[0:1], v[106:107]
	v_mul_f64_e32 v[34:35], s[4:5], v[106:107]
	;; [unrolled: 1-line block ×5, first 2 shown]
	v_fma_f64 v[189:190], v[98:99], s[24:25], v[108:109]
	v_fma_f64 v[108:109], v[98:99], s[36:37], v[108:109]
	;; [unrolled: 1-line block ×7, first 2 shown]
	v_fma_f64 v[112:113], v[36:37], s[18:19], -v[112:113]
	v_fma_f64 v[122:123], v[36:37], s[12:13], -v[122:123]
	v_fma_f64 v[197:198], v[98:99], s[50:51], v[42:43]
	v_fma_f64 v[42:43], v[98:99], s[34:35], v[42:43]
	;; [unrolled: 1-line block ×4, first 2 shown]
	v_fma_f64 v[118:119], v[36:37], s[0:1], -v[118:119]
	v_fma_f64 v[205:206], v[36:37], s[46:47], v[116:117]
	v_fma_f64 v[116:117], v[36:37], s[46:47], -v[116:117]
	v_fma_f64 v[207:208], v[36:37], s[16:17], v[114:115]
	v_fma_f64 v[114:115], v[36:37], s[16:17], -v[114:115]
	v_fma_f64 v[211:212], v[36:37], s[4:5], v[110:111]
	v_fma_f64 v[110:111], v[36:37], s[4:5], -v[110:111]
	v_fma_f64 v[219:220], v[62:63], s[22:23], v[134:135]
	v_fma_f64 v[221:222], v[40:41], s[18:19], v[136:137]
	v_fma_f64 v[134:135], v[62:63], s[48:49], v[134:135]
	;; [unrolled: 1-line block ×3, first 2 shown]
	v_fma_f64 v[241:242], v[40:41], s[0:1], -v[171:172]
	v_fma_f64 v[245:246], v[62:63], s[34:35], v[175:176]
	v_fma_f64 v[136:137], v[40:41], s[18:19], -v[136:137]
	v_fma_f64 v[217:218], v[60:61], s[30:31], v[130:131]
	v_fma_f64 v[130:131], v[60:61], s[40:41], v[130:131]
	;; [unrolled: 1-line block ×4, first 2 shown]
	v_add_f64_e32 v[153:154], v[142:143], v[30:31]
	v_add_f64_e32 v[151:152], v[151:152], v[28:29]
	v_mul_f64_e32 v[30:31], s[52:53], v[146:147]
	v_fma_f64 v[193:194], v[98:99], s[10:11], v[102:103]
	v_mul_f64_e32 v[142:143], s[20:21], v[144:145]
	v_fma_f64 v[102:103], v[98:99], s[44:45], v[102:103]
	v_fma_f64 v[195:196], v[98:99], s[52:53], v[100:101]
	;; [unrolled: 1-line block ×4, first 2 shown]
	v_add_f64_e32 v[189:190], v[10:11], v[189:190]
	v_add_f64_e32 v[108:109], v[10:11], v[108:109]
	;; [unrolled: 1-line block ×7, first 2 shown]
	v_mul_f64_e32 v[28:29], s[26:27], v[46:47]
	v_mul_f64_e32 v[144:145], s[18:19], v[144:145]
	;; [unrolled: 1-line block ×3, first 2 shown]
	v_add_f64_e32 v[122:123], v[8:9], v[122:123]
	v_fma_f64 v[140:141], v[62:63], s[52:53], v[140:141]
	v_fma_f64 v[239:240], v[62:63], s[44:45], v[169:170]
	;; [unrolled: 1-line block ×4, first 2 shown]
	v_add_f64_e32 v[118:119], v[8:9], v[118:119]
	v_add_f64_e32 v[197:198], v[10:11], v[197:198]
	;; [unrolled: 1-line block ×5, first 2 shown]
	v_mul_f64_e32 v[120:121], s[40:41], v[46:47]
	v_mul_f64_e32 v[46:47], s[22:23], v[46:47]
	v_fma_f64 v[215:216], v[40:41], s[20:21], v[128:129]
	v_fma_f64 v[231:232], v[60:61], s[42:43], v[159:160]
	;; [unrolled: 1-line block ×7, first 2 shown]
	v_add_f64_e32 v[26:27], v[153:154], v[26:27]
	v_add_f64_e32 v[24:25], v[151:152], v[24:25]
	v_fma_f64 v[151:152], v[98:99], s[42:43], v[34:35]
	v_fma_f64 v[34:35], v[98:99], s[28:29], v[34:35]
	;; [unrolled: 1-line block ×5, first 2 shown]
	v_fma_f64 v[124:125], v[36:37], s[14:15], -v[124:125]
	v_fma_f64 v[36:37], v[36:37], s[20:21], -v[106:107]
	v_fma_f64 v[106:107], v[62:63], s[26:27], v[126:127]
	v_fma_f64 v[126:127], v[62:63], s[38:39], v[126:127]
	;; [unrolled: 1-line block ×3, first 2 shown]
	v_add_f64_e32 v[193:194], v[10:11], v[193:194]
	v_fma_f64 v[229:230], v[60:61], s[38:39], v[142:143]
	v_add_f64_e32 v[102:103], v[10:11], v[102:103]
	v_add_f64_e32 v[195:196], v[10:11], v[195:196]
	;; [unrolled: 1-line block ×7, first 2 shown]
	v_mul_f64_e32 v[241:242], s[12:13], v[96:97]
	v_fma_f64 v[169:170], v[62:63], s[10:11], v[169:170]
	v_fma_f64 v[175:176], v[62:63], s[50:51], v[175:176]
	;; [unrolled: 1-line block ×6, first 2 shown]
	v_add_f64_e32 v[205:206], v[8:9], v[205:206]
	v_add_f64_e32 v[116:117], v[8:9], v[116:117]
	;; [unrolled: 1-line block ×8, first 2 shown]
	v_fma_f64 v[128:129], v[40:41], s[20:21], -v[128:129]
	v_fma_f64 v[132:133], v[44:45], s[16:17], -v[132:133]
	v_add_f64_e32 v[22:23], v[26:27], v[22:23]
	v_add_f64_e32 v[20:21], v[24:25], v[20:21]
	v_fma_f64 v[24:25], v[40:41], s[46:47], -v[30:31]
	v_add_f64_e32 v[34:35], v[10:11], v[34:35]
	v_add_f64_e32 v[151:152], v[10:11], v[151:152]
	;; [unrolled: 1-line block ×4, first 2 shown]
	v_fma_f64 v[26:27], v[60:61], s[26:27], v[142:143]
	v_fma_f64 v[30:31], v[62:63], s[30:31], v[155:156]
	v_add_f64_e32 v[106:107], v[106:107], v[189:190]
	v_add_f64_e32 v[108:109], v[126:127], v[108:109]
	;; [unrolled: 1-line block ×4, first 2 shown]
	v_mul_f64_e32 v[225:226], s[0:1], v[96:97]
	v_mul_f64_e32 v[227:228], s[10:11], v[50:51]
	v_fma_f64 v[155:156], v[62:63], s[40:41], v[155:156]
	v_fma_f64 v[62:63], v[62:63], s[42:43], v[149:150]
	v_fma_f64 v[149:150], v[60:61], s[22:23], v[144:145]
	v_fma_f64 v[60:61], v[60:61], s[48:49], v[144:145]
	v_fma_f64 v[144:145], v[40:41], s[4:5], -v[146:147]
	v_add_f64_e32 v[98:99], v[8:9], v[98:99]
	v_add_f64_e32 v[124:125], v[8:9], v[124:125]
	;; [unrolled: 1-line block ×4, first 2 shown]
	v_fma_f64 v[142:143], v[40:41], s[12:13], -v[157:158]
	v_mul_f64_e32 v[189:190], s[0:1], v[94:95]
	v_add_f64_e32 v[102:103], v[140:141], v[102:103]
	v_mul_f64_e32 v[140:141], s[20:21], v[94:95]
	v_add_f64_e32 v[38:39], v[239:240], v[38:39]
	v_add_f64_e32 v[191:192], v[223:224], v[191:192]
	;; [unrolled: 1-line block ×4, first 2 shown]
	v_fma_f64 v[235:236], v[40:41], s[14:15], -v[165:166]
	v_fma_f64 v[247:248], v[40:41], s[16:17], -v[177:178]
	v_fma_f64 v[157:158], v[40:41], s[12:13], v[157:158]
	v_fma_f64 v[165:166], v[40:41], s[14:15], v[165:166]
	;; [unrolled: 1-line block ×4, first 2 shown]
	v_add_f64_e32 v[18:19], v[22:23], v[18:19]
	v_add_f64_e32 v[16:17], v[20:21], v[16:17]
	v_fma_f64 v[20:21], v[44:45], s[20:21], v[28:29]
	v_add_f64_e32 v[34:35], v[245:246], v[34:35]
	v_mul_f64_e32 v[245:246], s[40:41], v[50:51]
	v_add_f64_e32 v[24:25], v[24:25], v[118:119]
	v_mul_f64_e32 v[118:119], s[26:27], v[54:55]
	;; [unrolled: 2-line block ×3, first 2 shown]
	v_add_f64_e32 v[106:107], v[217:218], v[106:107]
	v_fma_f64 v[217:218], v[92:93], s[28:29], v[187:188]
	v_add_f64_e32 v[108:109], v[130:131], v[108:109]
	v_fma_f64 v[187:188], v[92:93], s[42:43], v[187:188]
	v_fma_f64 v[223:224], v[92:93], s[44:45], v[225:226]
	;; [unrolled: 1-line block ×4, first 2 shown]
	v_add_f64_e32 v[193:194], v[229:230], v[193:194]
	v_fma_f64 v[229:230], v[92:93], s[30:31], v[241:242]
	v_fma_f64 v[40:41], v[40:41], s[4:5], v[146:147]
	;; [unrolled: 1-line block ×3, first 2 shown]
	v_fma_f64 v[120:121], v[44:45], s[12:13], -v[120:121]
	v_fma_f64 v[22:23], v[44:45], s[20:21], -v[28:29]
	;; [unrolled: 1-line block ×3, first 2 shown]
	v_fma_f64 v[161:162], v[44:45], s[4:5], v[161:162]
	v_fma_f64 v[32:33], v[44:45], s[46:47], -v[181:182]
	v_fma_f64 v[36:37], v[44:45], s[46:47], v[181:182]
	v_fma_f64 v[181:182], v[44:45], s[14:15], -v[183:184]
	v_fma_f64 v[183:184], v[44:45], s[14:15], v[183:184]
	v_add_f64_e32 v[98:99], v[215:216], v[98:99]
	v_add_f64_e32 v[8:9], v[144:145], v[8:9]
	v_mul_f64_e32 v[144:145], s[50:51], v[54:55]
	v_add_f64_e32 v[124:125], v[128:129], v[124:125]
	v_add_f64_e32 v[122:123], v[132:133], v[122:123]
	v_fma_f64 v[227:228], v[48:49], s[0:1], -v[227:228]
	v_mul_f64_e32 v[126:127], s[18:19], v[90:91]
	v_add_f64_e32 v[30:31], v[30:31], v[100:101]
	v_mul_f64_e32 v[100:101], s[14:15], v[90:91]
	v_add_f64_e32 v[116:117], v[142:143], v[116:117]
	v_add_f64_e32 v[14:15], v[18:19], v[14:15]
	;; [unrolled: 1-line block ×3, first 2 shown]
	v_fma_f64 v[16:17], v[44:45], s[0:1], -v[185:186]
	v_fma_f64 v[18:19], v[44:45], s[0:1], v[185:186]
	v_fma_f64 v[185:186], v[44:45], s[18:19], -v[46:47]
	v_fma_f64 v[44:45], v[44:45], s[18:19], v[46:47]
	v_mul_f64_e32 v[46:47], s[42:43], v[50:51]
	v_add_f64_e32 v[20:21], v[20:21], v[203:204]
	v_fma_f64 v[203:204], v[48:49], s[12:13], v[245:246]
	v_mul_f64_e32 v[142:143], s[36:37], v[58:59]
	v_add_f64_e32 v[155:156], v[155:156], v[195:196]
	v_mul_f64_e32 v[195:196], s[4:5], v[90:91]
	v_add_f64_e32 v[106:107], v[217:218], v[106:107]
	v_fma_f64 v[217:218], v[88:89], s[10:11], v[189:190]
	v_add_f64_e32 v[108:109], v[187:188], v[108:109]
	v_fma_f64 v[189:190], v[88:89], s[44:45], v[189:190]
	;; [unrolled: 2-line block ×4, first 2 shown]
	v_add_f64_e32 v[201:202], v[253:254], v[201:202]
	v_add_f64_e32 v[104:105], v[225:226], v[104:105]
	v_fma_f64 v[140:141], v[88:89], s[26:27], v[140:141]
	v_add_f64_e32 v[193:194], v[229:230], v[193:194]
	v_fma_f64 v[229:230], v[88:89], s[34:35], v[251:252]
	v_mul_f64_e32 v[215:216], s[44:45], v[54:55]
	v_add_f64_e32 v[114:115], v[235:236], v[114:115]
	v_add_f64_e32 v[165:166], v[165:166], v[207:208]
	v_mul_f64_e32 v[207:208], s[28:29], v[58:59]
	v_add_f64_e32 v[98:99], v[146:147], v[98:99]
	v_add_f64_e32 v[26:27], v[26:27], v[102:103]
	v_fma_f64 v[241:242], v[92:93], s[40:41], v[241:242]
	v_add_f64_e32 v[22:23], v[22:23], v[24:25]
	v_fma_f64 v[245:246], v[48:49], s[12:13], -v[245:246]
	v_add_f64_e32 v[163:164], v[163:164], v[197:198]
	v_mul_f64_e32 v[197:198], s[22:23], v[50:51]
	v_add_f64_e32 v[120:121], v[120:121], v[124:125]
	v_add_f64_e32 v[122:123], v[227:228], v[122:123]
	v_fma_f64 v[118:119], v[52:53], s[20:21], -v[118:119]
	v_mul_f64_e32 v[219:220], s[46:47], v[86:87]
	v_mul_f64_e32 v[235:236], s[42:43], v[66:67]
	v_add_f64_e32 v[169:170], v[169:170], v[199:200]
	v_mul_f64_e32 v[199:200], s[14:15], v[86:87]
	v_add_f64_e32 v[157:158], v[157:158], v[205:206]
	v_fma_f64 v[146:147], v[48:49], s[4:5], v[46:47]
	v_fma_f64 v[46:47], v[48:49], s[4:5], -v[46:47]
	v_add_f64_e32 v[20:21], v[203:204], v[20:21]
	v_fma_f64 v[203:204], v[52:53], s[16:17], v[144:145]
	v_mul_f64_e32 v[205:206], s[18:19], v[96:97]
	v_mul_f64_e32 v[102:103], s[20:21], v[96:97]
	;; [unrolled: 1-line block ×3, first 2 shown]
	v_add_f64_e32 v[106:107], v[217:218], v[106:107]
	v_fma_f64 v[217:218], v[84:85], s[22:23], v[126:127]
	v_add_f64_e32 v[108:109], v[189:190], v[108:109]
	v_fma_f64 v[126:127], v[84:85], s[48:49], v[126:127]
	v_mul_f64_e32 v[253:254], s[52:53], v[50:51]
	v_add_f64_e32 v[191:192], v[243:244], v[191:192]
	v_fma_f64 v[243:244], v[84:85], s[24:25], v[100:101]
	v_add_f64_e32 v[201:202], v[223:224], v[201:202]
	v_fma_f64 v[223:224], v[56:57], s[14:15], v[142:143]
	;; [unrolled: 2-line block ×4, first 2 shown]
	v_add_f64_e32 v[32:33], v[32:33], v[114:115]
	v_mul_f64_e32 v[114:115], s[46:47], v[96:97]
	v_add_f64_e32 v[112:113], v[181:182], v[112:113]
	v_fma_f64 v[181:182], v[56:57], s[4:5], v[207:208]
	v_mul_f64_e32 v[128:129], s[48:49], v[58:59]
	v_add_f64_e32 v[26:27], v[241:242], v[26:27]
	v_mul_f64_e32 v[241:242], s[14:15], v[96:97]
	v_add_f64_e32 v[22:23], v[245:246], v[22:23]
	v_mul_f64_e32 v[245:246], s[36:37], v[50:51]
	v_mul_f64_e32 v[96:97], s[16:17], v[96:97]
	;; [unrolled: 1-line block ×3, first 2 shown]
	v_add_f64_e32 v[42:43], v[233:234], v[42:43]
	v_add_f64_e32 v[110:111], v[247:248], v[110:111]
	;; [unrolled: 1-line block ×3, first 2 shown]
	v_mul_f64_e32 v[211:212], s[36:37], v[54:55]
	v_add_f64_e32 v[28:29], v[28:29], v[116:117]
	v_fma_f64 v[116:117], v[48:49], s[18:19], -v[197:198]
	v_fma_f64 v[142:143], v[56:57], s[14:15], -v[142:143]
	v_add_f64_e32 v[98:99], v[146:147], v[98:99]
	v_fma_f64 v[146:147], v[52:53], s[0:1], v[215:216]
	v_add_f64_e32 v[46:47], v[46:47], v[120:121]
	v_add_f64_e32 v[20:21], v[203:204], v[20:21]
	v_fma_f64 v[215:216], v[52:53], s[0:1], -v[215:216]
	v_add_f64_e32 v[118:119], v[118:119], v[122:123]
	v_add_f64_e32 v[151:152], v[175:176], v[151:152]
	v_fma_f64 v[122:123], v[78:79], s[52:53], v[219:220]
	v_add_f64_e32 v[106:107], v[217:218], v[106:107]
	v_add_f64_e32 v[171:172], v[171:172], v[209:210]
	;; [unrolled: 1-line block ×3, first 2 shown]
	v_fma_f64 v[126:127], v[64:65], s[4:5], v[235:236]
	v_add_f64_e32 v[62:63], v[62:63], v[153:154]
	v_add_f64_e32 v[191:192], v[243:244], v[191:192]
	v_fma_f64 v[243:244], v[78:79], s[24:25], v[199:200]
	v_add_f64_e32 v[201:202], v[223:224], v[201:202]
	v_add_f64_e32 v[40:41], v[40:41], v[213:214]
	v_mul_f64_e32 v[124:125], s[14:15], v[94:95]
	v_add_f64_e32 v[140:141], v[140:141], v[193:194]
	v_mul_f64_e32 v[187:188], s[18:19], v[94:95]
	v_mul_f64_e32 v[120:121], s[22:23], v[54:55]
	;; [unrolled: 1-line block ×6, first 2 shown]
	v_add_f64_e32 v[26:27], v[251:252], v[26:27]
	v_fma_f64 v[251:252], v[48:49], s[20:21], -v[24:25]
	v_fma_f64 v[193:194], v[48:49], s[46:47], -v[253:254]
	v_add_f64_e32 v[34:35], v[249:250], v[34:35]
	v_add_f64_e32 v[10:11], v[149:150], v[10:11]
	;; [unrolled: 1-line block ×3, first 2 shown]
	v_fma_f64 v[185:186], v[92:93], s[34:35], v[96:97]
	v_add_f64_e32 v[155:156], v[159:160], v[155:156]
	v_fma_f64 v[159:160], v[48:49], s[16:17], -v[50:51]
	v_mul_f64_e32 v[233:234], s[4:5], v[86:87]
	v_mul_f64_e32 v[213:214], s[50:51], v[58:59]
	v_add_f64_e32 v[30:31], v[231:232], v[30:31]
	v_fma_f64 v[231:232], v[92:93], s[22:23], v[205:206]
	v_add_f64_e32 v[42:43], v[237:238], v[42:43]
	v_add_f64_e32 v[98:99], v[146:147], v[98:99]
	v_mul_f64_e32 v[146:147], s[12:13], v[94:95]
	v_mul_f64_e32 v[94:95], s[46:47], v[94:95]
	v_add_f64_e32 v[20:21], v[181:182], v[20:21]
	v_fma_f64 v[181:182], v[92:93], s[36:37], v[241:242]
	v_add_f64_e32 v[28:29], v[116:117], v[28:29]
	v_fma_f64 v[116:117], v[52:53], s[14:15], -v[211:212]
	v_add_f64_e32 v[46:47], v[215:216], v[46:47]
	v_fma_f64 v[215:216], v[56:57], s[18:19], v[128:129]
	v_fma_f64 v[203:204], v[92:93], s[38:39], v[102:103]
	v_add_f64_e32 v[118:119], v[142:143], v[118:119]
	v_fma_f64 v[142:143], v[92:93], s[52:53], v[114:115]
	v_fma_f64 v[249:250], v[48:49], s[14:15], -v[245:246]
	v_add_f64_e32 v[16:17], v[16:17], v[110:111]
	v_fma_f64 v[205:206], v[92:93], s[48:49], v[205:206]
	v_fma_f64 v[197:198], v[48:49], s[18:19], v[197:198]
	;; [unrolled: 1-line block ×4, first 2 shown]
	v_add_f64_e32 v[157:158], v[161:162], v[157:158]
	v_add_f64_e32 v[161:162], v[167:168], v[163:164]
	;; [unrolled: 1-line block ×10, first 2 shown]
	v_fma_f64 v[14:15], v[92:93], s[24:25], v[241:242]
	v_add_f64_e32 v[18:19], v[18:19], v[177:178]
	v_fma_f64 v[140:141], v[48:49], s[14:15], v[245:246]
	v_fma_f64 v[102:103], v[92:93], s[26:27], v[102:103]
	;; [unrolled: 1-line block ×3, first 2 shown]
	v_add_f64_e32 v[165:166], v[183:184], v[171:172]
	v_fma_f64 v[144:145], v[52:53], s[16:17], -v[144:145]
	v_fma_f64 v[92:93], v[92:93], s[50:51], v[96:97]
	v_add_f64_e32 v[60:61], v[60:61], v[62:63]
	v_fma_f64 v[48:49], v[48:49], s[16:17], v[50:51]
	v_add_f64_e32 v[40:41], v[44:45], v[40:41]
	v_mul_f64_e32 v[153:154], s[16:17], v[90:91]
	v_mul_f64_e32 v[237:238], s[12:13], v[90:91]
	v_fma_f64 v[149:150], v[52:53], s[18:19], -v[120:121]
	v_add_f64_e32 v[32:33], v[251:252], v[32:33]
	v_mul_f64_e32 v[151:152], s[40:41], v[58:59]
	v_add_f64_e32 v[112:113], v[193:194], v[112:113]
	v_fma_f64 v[167:168], v[52:53], s[4:5], -v[227:228]
	v_mul_f64_e32 v[169:170], s[20:21], v[90:91]
	v_mul_f64_e32 v[171:172], s[26:27], v[58:59]
	v_add_f64_e32 v[34:35], v[181:182], v[34:35]
	v_mul_f64_e32 v[179:180], s[46:47], v[90:91]
	v_mul_f64_e32 v[181:182], s[52:53], v[58:59]
	v_add_f64_e32 v[10:11], v[185:186], v[10:11]
	v_fma_f64 v[183:184], v[88:89], s[54:55], v[94:95]
	v_mul_f64_e32 v[90:91], s[0:1], v[90:91]
	v_add_f64_e32 v[8:9], v[159:160], v[8:9]
	v_fma_f64 v[159:160], v[52:53], s[46:47], -v[54:55]
	v_mul_f64_e32 v[58:59], s[44:45], v[58:59]
	v_add_f64_e32 v[30:31], v[231:232], v[30:31]
	v_fma_f64 v[231:232], v[88:89], s[36:37], v[124:125]
	v_add_f64_e32 v[28:29], v[116:117], v[28:29]
	v_fma_f64 v[116:117], v[56:57], s[16:17], -v[213:214]
	v_add_f64_e32 v[98:99], v[215:216], v[98:99]
	v_fma_f64 v[215:216], v[78:79], s[28:29], v[233:234]
	v_fma_f64 v[110:111], v[88:89], s[22:23], v[187:188]
	v_add_f64_e32 v[42:43], v[203:204], v[42:43]
	v_add_f64_e32 v[38:39], v[142:143], v[38:39]
	v_fma_f64 v[142:143], v[88:89], s[42:43], v[225:226]
	v_add_f64_e32 v[16:17], v[249:250], v[16:17]
	v_fma_f64 v[173:174], v[88:89], s[30:31], v[146:147]
	v_fma_f64 v[177:178], v[52:53], s[12:13], -v[189:190]
	v_add_f64_e32 v[155:156], v[205:206], v[155:156]
	v_fma_f64 v[124:125], v[88:89], s[24:25], v[124:125]
	v_add_f64_e32 v[157:158], v[197:198], v[157:158]
	v_fma_f64 v[185:186], v[52:53], s[14:15], v[211:212]
	v_add_f64_e32 v[24:25], v[24:25], v[36:37]
	v_fma_f64 v[36:37], v[52:53], s[18:19], v[120:121]
	v_add_f64_e32 v[44:45], v[114:115], v[163:164]
	v_fma_f64 v[50:51], v[88:89], s[28:29], v[225:226]
	v_add_f64_e32 v[12:13], v[14:15], v[12:13]
	v_fma_f64 v[14:15], v[88:89], s[40:41], v[146:147]
	v_add_f64_e32 v[18:19], v[140:141], v[18:19]
	v_fma_f64 v[120:121], v[52:53], s[12:13], v[189:190]
	v_add_f64_e32 v[102:103], v[102:103], v[161:162]
	v_fma_f64 v[62:63], v[88:89], s[48:49], v[187:188]
	v_add_f64_e32 v[96:97], v[253:254], v[165:166]
	v_fma_f64 v[114:115], v[52:53], s[4:5], v[227:228]
	v_mul_f64_e32 v[209:210], s[36:37], v[66:67]
	v_add_f64_e32 v[22:23], v[144:145], v[22:23]
	v_fma_f64 v[207:208], v[56:57], s[4:5], -v[207:208]
	v_fma_f64 v[88:89], v[88:89], s[52:53], v[94:95]
	v_add_f64_e32 v[60:61], v[92:93], v[60:61]
	v_fma_f64 v[52:53], v[52:53], s[46:47], v[54:55]
	v_add_f64_e32 v[40:41], v[48:49], v[40:41]
	v_mul_f64_e32 v[221:222], s[54:55], v[66:67]
	v_mul_f64_e32 v[138:139], s[20:21], v[86:87]
	;; [unrolled: 1-line block ×3, first 2 shown]
	v_fma_f64 v[128:129], v[56:57], s[18:19], -v[128:129]
	v_add_f64_e32 v[32:33], v[149:150], v[32:33]
	v_fma_f64 v[149:150], v[56:57], s[12:13], -v[151:152]
	v_mul_f64_e32 v[161:162], s[0:1], v[86:87]
	v_mul_f64_e32 v[163:164], s[10:11], v[66:67]
	v_add_f64_e32 v[112:113], v[167:168], v[112:113]
	v_fma_f64 v[165:166], v[56:57], s[20:21], -v[171:172]
	v_mul_f64_e32 v[167:168], s[16:17], v[86:87]
	v_mul_f64_e32 v[187:188], s[34:35], v[66:67]
	;; [unrolled: 1-line block ×3, first 2 shown]
	v_add_f64_e32 v[10:11], v[183:184], v[10:11]
	v_fma_f64 v[183:184], v[84:85], s[44:45], v[90:91]
	v_mul_f64_e32 v[86:87], s[12:13], v[86:87]
	v_add_f64_e32 v[8:9], v[159:160], v[8:9]
	v_fma_f64 v[48:49], v[56:57], s[0:1], -v[58:59]
	v_mul_f64_e32 v[54:55], s[40:41], v[66:67]
	v_add_f64_e32 v[30:31], v[231:232], v[30:31]
	v_fma_f64 v[231:232], v[84:85], s[50:51], v[153:154]
	v_add_f64_e32 v[28:29], v[116:117], v[28:29]
	v_add_f64_e32 v[116:117], v[215:216], v[191:192]
	;; [unrolled: 1-line block ×3, first 2 shown]
	v_fma_f64 v[110:111], v[84:85], s[40:41], v[237:238]
	v_add_f64_e32 v[38:39], v[142:143], v[38:39]
	v_fma_f64 v[142:143], v[84:85], s[26:27], v[169:170]
	v_add_f64_e32 v[34:35], v[173:174], v[34:35]
	v_add_f64_e32 v[16:17], v[177:178], v[16:17]
	v_fma_f64 v[173:174], v[84:85], s[52:53], v[179:180]
	v_fma_f64 v[177:178], v[56:57], s[46:47], -v[181:182]
	v_mul_f64_e32 v[191:192], s[48:49], v[66:67]
	v_fma_f64 v[195:196], v[84:85], s[28:29], v[195:196]
	v_fma_f64 v[100:101], v[84:85], s[36:37], v[100:101]
	v_add_f64_e32 v[66:67], v[124:125], v[155:156]
	v_add_f64_e32 v[92:93], v[185:186], v[157:158]
	;; [unrolled: 1-line block ×6, first 2 shown]
	v_fma_f64 v[18:19], v[84:85], s[34:35], v[153:154]
	v_fma_f64 v[50:51], v[56:57], s[16:17], v[213:214]
	v_add_f64_e32 v[62:63], v[62:63], v[102:103]
	v_add_f64_e32 v[44:45], v[114:115], v[96:97]
	v_fma_f64 v[94:95], v[84:85], s[30:31], v[237:238]
	v_fma_f64 v[96:97], v[56:57], s[12:13], v[151:152]
	;; [unrolled: 1-line block ×7, first 2 shown]
	v_fma_f64 v[209:210], v[64:65], s[14:15], -v[209:210]
	v_add_f64_e32 v[22:23], v[207:208], v[22:23]
	v_fma_f64 v[84:85], v[84:85], s[10:11], v[90:91]
	v_add_f64_e32 v[60:61], v[88:89], v[60:61]
	v_fma_f64 v[56:57], v[56:57], s[0:1], v[58:59]
	v_add_f64_e32 v[40:41], v[52:53], v[40:41]
	v_mul_f64_e32 v[134:135], s[16:17], v[80:81]
	v_mul_f64_e32 v[136:137], s[50:51], v[82:83]
	v_mul_f64_e32 v[239:240], s[46:47], v[80:81]
	v_mul_f64_e32 v[247:248], s[54:55], v[82:83]
	v_mul_f64_e32 v[175:176], s[18:19], v[80:81]
	v_mul_f64_e32 v[130:131], s[48:49], v[82:83]
	v_fma_f64 v[229:230], v[64:65], s[46:47], v[221:222]
	v_fma_f64 v[221:222], v[64:65], s[46:47], -v[221:222]
	v_add_f64_e32 v[46:47], v[128:129], v[46:47]
	v_fma_f64 v[146:147], v[64:65], s[20:21], -v[132:133]
	v_mul_f64_e32 v[151:152], s[0:1], v[80:81]
	v_mul_f64_e32 v[153:154], s[44:45], v[82:83]
	v_add_f64_e32 v[32:33], v[149:150], v[32:33]
	v_fma_f64 v[149:150], v[64:65], s[0:1], -v[163:164]
	v_mul_f64_e32 v[155:156], s[4:5], v[80:81]
	v_mul_f64_e32 v[157:158], s[42:43], v[82:83]
	;; [unrolled: 4-line block ×3, first 2 shown]
	v_mul_f64_e32 v[88:89], s[20:21], v[80:81]
	v_mul_f64_e32 v[90:91], s[38:39], v[82:83]
	v_add_f64_e32 v[10:11], v[183:184], v[10:11]
	v_fma_f64 v[171:172], v[78:79], s[40:41], v[86:87]
	v_add_f64_e32 v[8:9], v[48:49], v[8:9]
	v_fma_f64 v[48:49], v[64:65], s[12:13], -v[54:55]
	v_mul_f64_e32 v[80:81], s[14:15], v[80:81]
	v_mul_f64_e32 v[82:83], s[36:37], v[82:83]
	v_add_f64_e32 v[30:31], v[231:232], v[30:31]
	v_fma_f64 v[140:141], v[78:79], s[26:27], v[138:139]
	v_add_f64_e32 v[42:43], v[110:111], v[42:43]
	v_fma_f64 v[110:111], v[78:79], s[10:11], v[161:162]
	;; [unrolled: 2-line block ×3, first 2 shown]
	v_add_f64_e32 v[34:35], v[173:174], v[34:35]
	v_add_f64_e32 v[16:17], v[177:178], v[16:17]
	v_fma_f64 v[52:53], v[78:79], s[48:49], v[189:190]
	v_fma_f64 v[58:59], v[64:65], s[18:19], -v[191:192]
	v_fma_f64 v[199:200], v[78:79], s[36:37], v[199:200]
	v_add_f64_e32 v[26:27], v[195:196], v[26:27]
	v_fma_f64 v[233:234], v[78:79], s[42:43], v[233:234]
	v_fma_f64 v[235:236], v[64:65], s[4:5], -v[235:236]
	v_add_f64_e32 v[100:101], v[100:101], v[104:105]
	v_fma_f64 v[219:220], v[78:79], s[54:55], v[219:220]
	v_add_f64_e32 v[18:19], v[18:19], v[66:67]
	v_add_f64_e32 v[50:51], v[50:51], v[92:93]
	v_fma_f64 v[66:67], v[78:79], s[38:39], v[138:139]
	v_fma_f64 v[92:93], v[64:65], s[20:21], v[132:133]
	v_add_f64_e32 v[62:63], v[94:95], v[62:63]
	v_add_f64_e32 v[24:25], v[96:97], v[24:25]
	v_add_f64_e32 v[36:37], v[102:103], v[36:37]
	v_add_f64_e32 v[44:45], v[114:115], v[44:45]
	v_add_f64_e32 v[12:13], v[120:121], v[12:13]
	v_add_f64_e32 v[14:15], v[124:125], v[14:15]
	v_fma_f64 v[94:95], v[78:79], s[44:45], v[161:162]
	v_fma_f64 v[96:97], v[64:65], s[0:1], v[163:164]
	v_fma_f64 v[102:103], v[78:79], s[50:51], v[167:168]
	v_fma_f64 v[114:115], v[64:65], s[16:17], v[187:188]
	v_fma_f64 v[120:121], v[78:79], s[22:23], v[189:190]
	v_fma_f64 v[124:125], v[64:65], s[18:19], v[191:192]
	v_add_f64_e32 v[161:162], v[209:210], v[22:23]
	v_fma_f64 v[22:23], v[78:79], s[30:31], v[86:87]
	v_add_f64_e32 v[60:61], v[84:85], v[60:61]
	v_fma_f64 v[54:55], v[64:65], s[12:13], v[54:55]
	;; [unrolled: 2-line block ×3, first 2 shown]
	v_fma_f64 v[136:137], v[76:77], s[16:17], -v[136:137]
	v_add_f64_e32 v[46:47], v[221:222], v[46:47]
	v_add_f64_e32 v[28:29], v[146:147], v[28:29]
	;; [unrolled: 1-line block ×6, first 2 shown]
	v_fma_f64 v[149:150], v[74:75], s[36:37], v[80:81]
	v_fma_f64 v[159:160], v[76:77], s[14:15], -v[82:83]
	v_add_f64_e32 v[30:31], v[140:141], v[30:31]
	v_add_f64_e32 v[42:43], v[110:111], v[42:43]
	v_fma_f64 v[78:79], v[74:75], s[42:43], v[155:156]
	v_add_f64_e32 v[38:39], v[142:143], v[38:39]
	v_add_f64_e32 v[52:53], v[52:53], v[34:35]
	;; [unrolled: 1-line block ×3, first 2 shown]
	v_fma_f64 v[140:141], v[74:75], s[38:39], v[88:89]
	v_fma_f64 v[142:143], v[76:77], s[20:21], -v[90:91]
	v_fma_f64 v[110:111], v[74:75], s[40:41], v[165:166]
	v_fma_f64 v[112:113], v[76:77], s[12:13], -v[169:170]
	v_fma_f64 v[84:85], v[76:77], s[4:5], -v[157:158]
	v_fma_f64 v[56:57], v[74:75], s[44:45], v[151:152]
	v_fma_f64 v[64:65], v[76:77], s[0:1], -v[153:154]
	v_fma_f64 v[138:139], v[76:77], s[18:19], v[130:131]
	v_add_f64_e32 v[26:27], v[199:200], v[26:27]
	v_fma_f64 v[163:164], v[74:75], s[48:49], v[175:176]
	v_fma_f64 v[130:131], v[76:77], s[18:19], -v[130:131]
	v_fma_f64 v[128:129], v[74:75], s[52:53], v[239:240]
	v_fma_f64 v[104:105], v[76:77], s[46:47], v[247:248]
	;; [unrolled: 1-line block ×3, first 2 shown]
	v_fma_f64 v[247:248], v[76:77], s[46:47], -v[247:248]
	v_add_f64_e32 v[100:101], v[233:234], v[100:101]
	v_add_f64_e32 v[118:119], v[235:236], v[118:119]
	v_fma_f64 v[144:145], v[74:75], s[34:35], v[134:135]
	v_fma_f64 v[134:135], v[74:75], s[50:51], v[134:135]
	v_add_f64_e32 v[108:109], v[219:220], v[108:109]
	v_add_f64_e32 v[98:99], v[229:230], v[98:99]
	;; [unrolled: 1-line block ×3, first 2 shown]
	v_fma_f64 v[132:133], v[74:75], s[22:23], v[175:176]
	v_add_f64_e32 v[66:67], v[66:67], v[18:19]
	v_add_f64_e32 v[92:93], v[92:93], v[50:51]
	v_fma_f64 v[50:51], v[74:75], s[10:11], v[151:152]
	v_fma_f64 v[153:154], v[76:77], s[0:1], v[153:154]
	v_add_f64_e32 v[62:63], v[94:95], v[62:63]
	v_add_f64_e32 v[94:95], v[96:97], v[24:25]
	;; [unrolled: 1-line block ×6, first 2 shown]
	v_fma_f64 v[124:125], v[74:75], s[28:29], v[155:156]
	v_fma_f64 v[155:156], v[76:77], s[4:5], v[157:158]
	;; [unrolled: 1-line block ×6, first 2 shown]
	v_add_f64_e32 v[157:158], v[22:23], v[60:61]
	v_fma_f64 v[60:61], v[76:77], s[20:21], v[90:91]
	v_fma_f64 v[76:77], v[76:77], s[14:15], v[82:83]
	v_add_f64_e32 v[82:83], v[54:55], v[40:41]
	v_add_f64_e32 v[2:3], v[6:7], v[2:3]
	;; [unrolled: 1-line block ×35, first 2 shown]
	ds_store_b128 v71, v[0:3]
	ds_store_b128 v71, v[44:47] offset:16
	ds_store_b128 v71, v[40:43] offset:32
	;; [unrolled: 1-line block ×16, first 2 shown]
.LBB0_21:
	s_or_b32 exec_lo, exec_lo, s33
	v_add_nc_u16 v1, v70, 0x77
	v_add_nc_u32_e32 v2, 0xee, v70
	v_add_nc_u32_e32 v13, 0x165, v70
	v_and_b32_e32 v0, 0xff, v70
	v_add_nc_u32_e32 v14, 0x1dc, v70
	v_and_b32_e32 v3, 0xff, v1
	v_and_b32_e32 v5, 0xffff, v2
	v_add_nc_u32_e32 v15, 0x253, v70
	v_mul_lo_u16 v67, 0xf1, v0
	v_and_b32_e32 v6, 0xffff, v13
	v_add_nc_u32_e32 v16, 0x2ca, v70
	v_mul_lo_u16 v3, 0xf1, v3
	v_and_b32_e32 v7, 0xffff, v14
	v_mul_u32_u24_e32 v5, 0xf0f1, v5
	v_lshrrev_b16 v4, 12, v67
	v_and_b32_e32 v10, 0xffff, v15
	v_mul_u32_u24_e32 v6, 0xf0f1, v6
	v_lshrrev_b16 v0, 12, v3
	v_and_b32_e32 v11, 0xffff, v16
	v_mul_u32_u24_e32 v7, 0xf0f1, v7
	v_lshrrev_b32_e32 v71, 20, v5
	v_mul_lo_u16 v8, v4, 17
	v_mul_u32_u24_e32 v10, 0xf0f1, v10
	v_lshrrev_b32_e32 v86, 20, v6
	v_mul_lo_u16 v9, v0, 17
	;; [unrolled: 3-line block ×3, first 2 shown]
	v_sub_nc_u16 v8, v70, v8
	v_lshrrev_b32_e32 v90, 20, v10
	v_mul_lo_u16 v19, v86, 17
	v_sub_nc_u16 v9, v1, v9
	v_lshrrev_b32_e32 v91, 20, v17
	v_mul_lo_u16 v17, v89, 17
	v_sub_nc_u16 v2, v2, v18
	v_and_b32_e32 v8, 0xff, v8
	v_mul_lo_u16 v18, v90, 17
	v_sub_nc_u16 v13, v13, v19
	v_and_b32_e32 v9, 0xff, v9
	;; [unrolled: 3-line block ×3, first 2 shown]
	v_lshlrev_b32_e32 v87, 4, v8
	v_sub_nc_u16 v15, v15, v18
	v_and_b32_e32 v13, 0xffff, v13
	v_lshlrev_b32_e32 v88, 4, v9
	v_sub_nc_u16 v16, v16, v19
	v_and_b32_e32 v14, 0xffff, v14
	v_lshlrev_b32_e32 v92, 4, v2
	global_wb scope:SCOPE_SE
	s_wait_dscnt 0x0
	s_barrier_signal -1
	s_barrier_wait -1
	global_inv scope:SCOPE_SE
	s_clause 0x1
	global_load_b128 v[5:8], v87, s[8:9]
	global_load_b128 v[9:12], v88, s[8:9]
	v_and_b32_e32 v2, 0xffff, v15
	v_lshlrev_b32_e32 v93, 4, v13
	v_and_b32_e32 v21, 0xffff, v16
	v_lshlrev_b32_e32 v94, 4, v14
	global_load_b128 v[13:16], v92, s[8:9]
	v_lshlrev_b32_e32 v95, 4, v2
	global_load_b128 v[17:20], v93, s[8:9]
	v_lshlrev_b32_e32 v96, 4, v21
	s_clause 0x2
	global_load_b128 v[21:24], v94, s[8:9]
	global_load_b128 v[25:28], v95, s[8:9]
	global_load_b128 v[29:32], v96, s[8:9]
	ds_load_b128 v[33:36], v148 offset:13328
	ds_load_b128 v[37:40], v148 offset:15232
	;; [unrolled: 1-line block ×8, first 2 shown]
	v_lshrrev_b16 v2, 13, v67
	v_lshrrev_b16 v3, 13, v3
	s_mov_b32 s12, 0x37e14327
	s_mov_b32 s0, 0x36b3c0b5
	;; [unrolled: 1-line block ×4, first 2 shown]
	v_mul_lo_u16 v67, v3, 34
	s_mov_b32 s1, 0x3fac98ee
	s_mov_b32 s15, 0xbfe11646
	s_mov_b32 s4, 0x429ad128
	s_mov_b32 s5, 0x3febfeb5
	v_sub_nc_u16 v1, v1, v67
	v_mul_u32_u24_e32 v67, 0x220, v91
	s_mov_b32 s10, 0xaaaaaaaa
	s_mov_b32 s16, 0x5476071b
	;; [unrolled: 1-line block ×3, first 2 shown]
	v_and_b32_e32 v1, 0xff, v1
	v_add3_u32 v67, 0, v67, v96
	s_mov_b32 s11, 0xbff2aaaa
	s_mov_b32 s17, 0x3fe77f67
	s_mov_b32 s23, 0x3fd5d0dc
	s_mov_b32 s19, 0xbfe77f67
	s_mov_b32 s21, 0xbfd5d0dc
	s_wait_alu 0xfffe
	s_mov_b32 s18, s16
	s_mov_b32 s20, s22
	;; [unrolled: 1-line block ×4, first 2 shown]
	v_and_b32_e32 v3, 0xffff, v3
	s_delay_alu instid0(VALU_DEP_1)
	v_mul_u32_u24_e32 v3, 0xee0, v3
	s_wait_loadcnt_dscnt 0x607
	v_mul_f64_e32 v[65:66], v[35:36], v[7:8]
	v_mul_f64_e32 v[7:8], v[33:34], v[7:8]
	s_wait_loadcnt_dscnt 0x506
	v_mul_f64_e32 v[74:75], v[39:40], v[11:12]
	v_mul_f64_e32 v[11:12], v[37:38], v[11:12]
	;; [unrolled: 3-line block ×7, first 2 shown]
	v_fma_f64 v[33:34], v[33:34], v[5:6], -v[65:66]
	v_fma_f64 v[35:36], v[35:36], v[5:6], v[7:8]
	v_fma_f64 v[37:38], v[37:38], v[9:10], -v[74:75]
	v_fma_f64 v[39:40], v[39:40], v[9:10], v[11:12]
	v_and_b32_e32 v65, 0xffff, v4
	v_fma_f64 v[41:42], v[41:42], v[13:14], -v[76:77]
	v_fma_f64 v[43:44], v[43:44], v[13:14], v[15:16]
	v_fma_f64 v[45:46], v[45:46], v[17:18], -v[78:79]
	v_fma_f64 v[47:48], v[47:48], v[17:18], v[19:20]
	;; [unrolled: 2-line block ×5, first 2 shown]
	ds_load_b128 v[5:8], v148
	ds_load_b128 v[9:12], v148 offset:1904
	ds_load_b128 v[13:16], v148 offset:3808
	;; [unrolled: 1-line block ×5, first 2 shown]
	global_wb scope:SCOPE_SE
	s_wait_dscnt 0x0
	s_barrier_signal -1
	s_barrier_wait -1
	global_inv scope:SCOPE_SE
	v_add_f64_e64 v[29:30], v[5:6], -v[33:34]
	v_add_f64_e64 v[31:32], v[7:8], -v[35:36]
	;; [unrolled: 1-line block ×14, first 2 shown]
	v_mul_lo_u16 v57, v2, 34
	v_and_b32_e32 v2, 0xffff, v2
	s_delay_alu instid0(VALU_DEP_2) | instskip(NEXT) | instid1(VALU_DEP_2)
	v_sub_nc_u16 v66, v70, v57
	v_mul_u32_u24_e32 v2, 0xee0, v2
	v_fma_f64 v[4:5], v[5:6], 2.0, -v[29:30]
	v_fma_f64 v[6:7], v[7:8], 2.0, -v[31:32]
	;; [unrolled: 1-line block ×14, first 2 shown]
	v_and_b32_e32 v61, 0xffff, v0
	v_and_b32_e32 v0, 0xff, v66
	v_mul_u32_u24_e32 v28, 0x220, v65
	v_mul_u32_u24_e32 v62, 0x220, v71
	;; [unrolled: 1-line block ×7, first 2 shown]
	v_add3_u32 v28, 0, v28, v87
	v_add3_u32 v61, 0, v61, v88
	v_lshlrev_b32_e32 v66, 4, v66
	v_mul_u32_u24_e32 v71, 6, v1
	v_add3_u32 v62, 0, v62, v92
	v_add3_u32 v63, 0, v63, v93
	;; [unrolled: 1-line block ×4, first 2 shown]
	ds_store_b128 v28, v[4:7]
	ds_store_b128 v28, v[29:32] offset:272
	ds_store_b128 v61, v[8:11]
	ds_store_b128 v61, v[33:36] offset:272
	;; [unrolled: 2-line block ×7, first 2 shown]
	global_wb scope:SCOPE_SE
	s_wait_dscnt 0x0
	s_barrier_signal -1
	s_barrier_wait -1
	global_inv scope:SCOPE_SE
	s_clause 0x2
	global_load_b128 v[4:7], v66, s[8:9] offset:272
	global_load_b128 v[8:11], v66, s[8:9] offset:288
	;; [unrolled: 1-line block ×3, first 2 shown]
	v_lshlrev_b32_e32 v48, 4, v71
	s_clause 0x8
	global_load_b128 v[16:19], v66, s[8:9] offset:336
	global_load_b128 v[20:23], v48, s[8:9] offset:272
	;; [unrolled: 1-line block ×9, first 2 shown]
	ds_load_b128 v[52:55], v148 offset:3808
	ds_load_b128 v[56:59], v148 offset:7616
	;; [unrolled: 1-line block ×12, first 2 shown]
	v_lshlrev_b32_e32 v0, 4, v0
	v_lshlrev_b32_e32 v1, 4, v1
	s_delay_alu instid0(VALU_DEP_2) | instskip(NEXT) | instid1(VALU_DEP_2)
	v_add3_u32 v0, 0, v2, v0
	v_add3_u32 v1, 0, v3, v1
	s_wait_loadcnt_dscnt 0x808
	v_mul_f64_e32 v[112:113], v[66:67], v[18:19]
	v_mul_f64_e32 v[106:107], v[54:55], v[6:7]
	;; [unrolled: 1-line block ×8, first 2 shown]
	s_wait_loadcnt_dscnt 0x707
	v_mul_f64_e32 v[114:115], v[76:77], v[22:23]
	v_mul_f64_e32 v[22:23], v[74:75], v[22:23]
	s_wait_loadcnt_dscnt 0x606
	v_mul_f64_e32 v[116:117], v[80:81], v[26:27]
	v_mul_f64_e32 v[26:27], v[78:79], v[26:27]
	;; [unrolled: 3-line block ×5, first 2 shown]
	s_wait_loadcnt 0x2
	v_mul_f64_e32 v[124:125], v[92:93], v[42:43]
	v_mul_f64_e32 v[42:43], v[90:91], v[42:43]
	v_fma_f64 v[52:53], v[52:53], v[4:5], -v[106:107]
	v_fma_f64 v[4:5], v[54:55], v[4:5], v[6:7]
	v_fma_f64 v[6:7], v[56:57], v[8:9], -v[108:109]
	v_fma_f64 v[8:9], v[58:59], v[8:9], v[10:11]
	;; [unrolled: 2-line block ×4, first 2 shown]
	s_wait_loadcnt_dscnt 0x101
	v_mul_f64_e32 v[18:19], v[100:101], v[46:47]
	v_mul_f64_e32 v[46:47], v[98:99], v[46:47]
	s_wait_loadcnt_dscnt 0x0
	v_mul_f64_e32 v[54:55], v[104:105], v[50:51]
	v_mul_f64_e32 v[50:51], v[102:103], v[50:51]
	v_fma_f64 v[56:57], v[74:75], v[20:21], -v[114:115]
	v_fma_f64 v[20:21], v[76:77], v[20:21], v[22:23]
	v_fma_f64 v[22:23], v[78:79], v[24:25], -v[116:117]
	v_fma_f64 v[24:25], v[80:81], v[24:25], v[26:27]
	v_fma_f64 v[26:27], v[82:83], v[28:29], -v[118:119]
	v_fma_f64 v[28:29], v[84:85], v[28:29], v[30:31]
	v_fma_f64 v[30:31], v[86:87], v[32:33], -v[120:121]
	v_fma_f64 v[32:33], v[88:89], v[32:33], v[34:35]
	v_fma_f64 v[34:35], v[94:95], v[36:37], -v[122:123]
	v_fma_f64 v[36:37], v[96:97], v[36:37], v[38:39]
	v_fma_f64 v[38:39], v[90:91], v[40:41], -v[124:125]
	v_fma_f64 v[40:41], v[92:93], v[40:41], v[42:43]
	v_add_f64_e32 v[42:43], v[52:53], v[10:11]
	v_add_f64_e32 v[58:59], v[4:5], v[12:13]
	;; [unrolled: 1-line block ×4, first 2 shown]
	v_fma_f64 v[18:19], v[98:99], v[44:45], -v[18:19]
	v_fma_f64 v[44:45], v[100:101], v[44:45], v[46:47]
	v_fma_f64 v[46:47], v[102:103], v[48:49], -v[54:55]
	v_fma_f64 v[48:49], v[104:105], v[48:49], v[50:51]
	v_add_f64_e64 v[14:15], v[6:7], -v[14:15]
	v_add_f64_e64 v[16:17], v[8:9], -v[16:17]
	;; [unrolled: 1-line block ×3, first 2 shown]
	v_add_f64_e32 v[50:51], v[56:57], v[26:27]
	v_add_f64_e32 v[54:55], v[20:21], v[28:29]
	;; [unrolled: 1-line block ×4, first 2 shown]
	v_add_f64_e64 v[22:23], v[22:23], -v[30:31]
	v_add_f64_e64 v[24:25], v[24:25], -v[32:33]
	v_add_f64_e32 v[74:75], v[34:35], v[38:39]
	v_add_f64_e32 v[76:77], v[36:37], v[40:41]
	v_add_f64_e64 v[34:35], v[38:39], -v[34:35]
	v_add_f64_e64 v[36:37], v[40:41], -v[36:37]
	;; [unrolled: 1-line block ×5, first 2 shown]
	v_add_f64_e32 v[4:5], v[60:61], v[42:43]
	v_add_f64_e32 v[6:7], v[62:63], v[58:59]
	;; [unrolled: 1-line block ×4, first 2 shown]
	v_add_f64_e64 v[18:19], v[46:47], -v[18:19]
	v_add_f64_e64 v[30:31], v[48:49], -v[44:45]
	;; [unrolled: 1-line block ×3, first 2 shown]
	v_add_f64_e32 v[28:29], v[64:65], v[50:51]
	v_add_f64_e32 v[32:33], v[66:67], v[54:55]
	v_add_f64_e64 v[40:41], v[42:43], -v[74:75]
	v_add_f64_e64 v[44:45], v[58:59], -v[76:77]
	;; [unrolled: 1-line block ×11, first 2 shown]
	v_add_f64_e32 v[14:15], v[34:35], v[14:15]
	v_add_f64_e32 v[16:17], v[36:37], v[16:17]
	v_add_f64_e64 v[34:35], v[38:39], -v[34:35]
	v_add_f64_e64 v[36:37], v[12:13], -v[36:37]
	v_add_f64_e32 v[74:75], v[74:75], v[4:5]
	v_add_f64_e32 v[76:77], v[76:77], v[6:7]
	v_add_f64_e64 v[82:83], v[50:51], -v[8:9]
	v_add_f64_e64 v[84:85], v[54:55], -v[10:11]
	;; [unrolled: 1-line block ×6, first 2 shown]
	v_add_f64_e32 v[22:23], v[18:19], v[22:23]
	v_add_f64_e32 v[24:25], v[30:31], v[24:25]
	;; [unrolled: 1-line block ×4, first 2 shown]
	ds_load_b128 v[4:7], v148
	ds_load_b128 v[8:11], v148 offset:1904
	v_mul_f64_e32 v[100:101], s[4:5], v[80:81]
	v_mul_f64_e32 v[40:41], s[12:13], v[40:41]
	;; [unrolled: 1-line block ×8, first 2 shown]
	v_add_f64_e64 v[18:19], v[26:27], -v[18:19]
	v_add_f64_e64 v[30:31], v[20:21], -v[30:31]
	v_mul_f64_e32 v[102:103], s[4:5], v[90:91]
	v_mul_f64_e32 v[104:105], s[4:5], v[92:93]
	v_add_f64_e64 v[50:51], v[64:65], -v[50:51]
	v_add_f64_e64 v[54:55], v[66:67], -v[54:55]
	v_add_f64_e32 v[14:15], v[14:15], v[38:39]
	v_add_f64_e32 v[12:13], v[16:17], v[12:13]
	global_wb scope:SCOPE_SE
	s_wait_dscnt 0x0
	s_barrier_signal -1
	s_barrier_wait -1
	global_inv scope:SCOPE_SE
	v_add_f64_e32 v[4:5], v[4:5], v[74:75]
	v_add_f64_e32 v[6:7], v[6:7], v[76:77]
	v_mul_f64_e32 v[82:83], s[12:13], v[82:83]
	v_mul_f64_e32 v[84:85], s[12:13], v[84:85]
	;; [unrolled: 1-line block ×6, first 2 shown]
	v_add_f64_e32 v[16:17], v[22:23], v[26:27]
	v_add_f64_e32 v[20:21], v[24:25], v[20:21]
	;; [unrolled: 1-line block ×4, first 2 shown]
	v_fma_f64 v[22:23], v[46:47], s[0:1], v[40:41]
	v_fma_f64 v[24:25], v[48:49], s[0:1], v[44:45]
	v_fma_f64 v[26:27], v[42:43], s[16:17], -v[60:61]
	v_fma_f64 v[38:39], v[58:59], s[16:17], -v[62:63]
	v_fma_f64 v[46:47], v[34:35], s[22:23], v[52:53]
	v_fma_f64 v[48:49], v[36:37], s[22:23], v[56:57]
	s_wait_alu 0xfffe
	v_fma_f64 v[34:35], v[34:35], s[20:21], -v[98:99]
	v_fma_f64 v[36:37], v[36:37], s[20:21], -v[100:101]
	;; [unrolled: 1-line block ×6, first 2 shown]
	v_fma_f64 v[60:61], v[74:75], s[10:11], v[4:5]
	v_fma_f64 v[62:63], v[76:77], s[10:11], v[6:7]
	;; [unrolled: 1-line block ×6, first 2 shown]
	v_fma_f64 v[78:79], v[90:91], s[4:5], -v[86:87]
	v_fma_f64 v[80:81], v[92:93], s[4:5], -v[88:89]
	;; [unrolled: 1-line block ×4, first 2 shown]
	v_fma_f64 v[28:29], v[28:29], s[10:11], v[8:9]
	v_fma_f64 v[32:33], v[32:33], s[10:11], v[10:11]
	v_fma_f64 v[82:83], v[50:51], s[18:19], -v[82:83]
	v_fma_f64 v[84:85], v[54:55], s[18:19], -v[84:85]
	;; [unrolled: 1-line block ×4, first 2 shown]
	v_fma_f64 v[46:47], v[14:15], s[24:25], v[46:47]
	v_fma_f64 v[48:49], v[12:13], s[24:25], v[48:49]
	;; [unrolled: 1-line block ×6, first 2 shown]
	v_add_f64_e32 v[64:65], v[22:23], v[60:61]
	v_add_f64_e32 v[66:67], v[24:25], v[62:63]
	;; [unrolled: 1-line block ×6, first 2 shown]
	v_fma_f64 v[60:61], v[16:17], s[24:25], v[74:75]
	v_fma_f64 v[62:63], v[20:21], s[24:25], v[76:77]
	;; [unrolled: 1-line block ×6, first 2 shown]
	v_add_f64_e32 v[86:87], v[44:45], v[28:29]
	v_add_f64_e32 v[58:59], v[58:59], v[32:33]
	;; [unrolled: 1-line block ×7, first 2 shown]
	v_add_f64_e64 v[14:15], v[66:67], -v[46:47]
	v_add_f64_e32 v[16:17], v[36:37], v[40:41]
	v_add_f64_e64 v[18:19], v[42:43], -v[34:35]
	v_add_f64_e64 v[20:21], v[24:25], -v[56:57]
	v_add_f64_e32 v[22:23], v[52:53], v[26:27]
	v_add_f64_e32 v[24:25], v[56:57], v[24:25]
	v_add_f64_e64 v[26:27], v[26:27], -v[52:53]
	v_add_f64_e64 v[28:29], v[40:41], -v[36:37]
	v_add_f64_e32 v[30:31], v[34:35], v[42:43]
	v_add_f64_e64 v[32:33], v[64:65], -v[48:49]
	v_add_f64_e32 v[34:35], v[46:47], v[66:67]
	v_add_f64_e32 v[36:37], v[62:63], v[86:87]
	v_add_f64_e64 v[38:39], v[58:59], -v[60:61]
	v_add_f64_e32 v[40:41], v[80:81], v[82:83]
	v_add_f64_e64 v[42:43], v[84:85], -v[78:79]
	v_add_f64_e64 v[44:45], v[50:51], -v[76:77]
	v_add_f64_e32 v[46:47], v[74:75], v[54:55]
	v_add_f64_e32 v[48:49], v[76:77], v[50:51]
	v_add_f64_e64 v[50:51], v[54:55], -v[74:75]
	v_add_f64_e64 v[52:53], v[82:83], -v[80:81]
	v_add_f64_e32 v[54:55], v[78:79], v[84:85]
	v_add_f64_e64 v[56:57], v[86:87], -v[62:63]
	v_add_f64_e32 v[58:59], v[60:61], v[58:59]
	v_mul_u32_u24_e32 v60, 6, v70
	ds_store_b128 v0, v[4:7]
	ds_store_b128 v0, v[12:15] offset:544
	ds_store_b128 v0, v[16:19] offset:1088
	;; [unrolled: 1-line block ×6, first 2 shown]
	ds_store_b128 v1, v[8:11]
	ds_store_b128 v1, v[36:39] offset:544
	ds_store_b128 v1, v[40:43] offset:1088
	;; [unrolled: 1-line block ×6, first 2 shown]
	v_lshlrev_b32_e32 v60, 4, v60
	global_wb scope:SCOPE_SE
	s_wait_dscnt 0x0
	s_barrier_signal -1
	s_barrier_wait -1
	global_inv scope:SCOPE_SE
	s_clause 0xb
	global_load_b128 v[0:3], v60, s[8:9] offset:3536
	global_load_b128 v[4:7], v60, s[8:9] offset:3552
	;; [unrolled: 1-line block ×12, first 2 shown]
	ds_load_b128 v[48:51], v148 offset:3808
	ds_load_b128 v[52:55], v148 offset:7616
	;; [unrolled: 1-line block ×12, first 2 shown]
	s_wait_loadcnt_dscnt 0xb0b
	v_mul_f64_e32 v[102:103], v[50:51], v[2:3]
	v_mul_f64_e32 v[2:3], v[48:49], v[2:3]
	s_wait_loadcnt_dscnt 0xa0a
	v_mul_f64_e32 v[104:105], v[54:55], v[6:7]
	v_mul_f64_e32 v[6:7], v[52:53], v[6:7]
	s_wait_loadcnt_dscnt 0x909
	v_mul_f64_e32 v[106:107], v[58:59], v[10:11]
	v_mul_f64_e32 v[10:11], v[56:57], v[10:11]
	s_wait_loadcnt_dscnt 0x808
	v_mul_f64_e32 v[108:109], v[62:63], v[14:15]
	v_mul_f64_e32 v[14:15], v[60:61], v[14:15]
	s_wait_loadcnt_dscnt 0x707
	v_mul_f64_e32 v[110:111], v[66:67], v[18:19]
	v_mul_f64_e32 v[18:19], v[64:65], v[18:19]
	s_wait_loadcnt_dscnt 0x606
	v_mul_f64_e32 v[112:113], v[76:77], v[22:23]
	v_mul_f64_e32 v[22:23], v[74:75], v[22:23]
	s_wait_loadcnt_dscnt 0x505
	v_mul_f64_e32 v[114:115], v[80:81], v[26:27]
	v_mul_f64_e32 v[26:27], v[78:79], v[26:27]
	s_wait_loadcnt_dscnt 0x404
	v_mul_f64_e32 v[116:117], v[84:85], v[30:31]
	v_mul_f64_e32 v[30:31], v[82:83], v[30:31]
	s_wait_loadcnt_dscnt 0x302
	v_mul_f64_e32 v[118:119], v[92:93], v[34:35]
	v_mul_f64_e32 v[34:35], v[90:91], v[34:35]
	s_wait_loadcnt 0x2
	v_mul_f64_e32 v[120:121], v[88:89], v[38:39]
	v_mul_f64_e32 v[38:39], v[86:87], v[38:39]
	v_fma_f64 v[48:49], v[48:49], v[0:1], -v[102:103]
	v_fma_f64 v[0:1], v[50:51], v[0:1], v[2:3]
	v_fma_f64 v[2:3], v[52:53], v[4:5], -v[104:105]
	v_fma_f64 v[4:5], v[54:55], v[4:5], v[6:7]
	;; [unrolled: 2-line block ×4, first 2 shown]
	s_wait_loadcnt_dscnt 0x101
	v_mul_f64_e32 v[14:15], v[96:97], v[42:43]
	v_mul_f64_e32 v[42:43], v[94:95], v[42:43]
	s_wait_loadcnt_dscnt 0x0
	v_mul_f64_e32 v[50:51], v[100:101], v[46:47]
	v_mul_f64_e32 v[46:47], v[98:99], v[46:47]
	v_fma_f64 v[52:53], v[64:65], v[16:17], -v[110:111]
	v_fma_f64 v[16:17], v[66:67], v[16:17], v[18:19]
	v_fma_f64 v[18:19], v[74:75], v[20:21], -v[112:113]
	v_fma_f64 v[20:21], v[76:77], v[20:21], v[22:23]
	;; [unrolled: 2-line block ×6, first 2 shown]
	v_add_f64_e32 v[38:39], v[48:49], v[6:7]
	v_add_f64_e32 v[54:55], v[0:1], v[8:9]
	;; [unrolled: 1-line block ×4, first 2 shown]
	v_fma_f64 v[14:15], v[94:95], v[40:41], -v[14:15]
	v_fma_f64 v[40:41], v[96:97], v[40:41], v[42:43]
	v_fma_f64 v[42:43], v[98:99], v[44:45], -v[50:51]
	v_fma_f64 v[44:45], v[100:101], v[44:45], v[46:47]
	v_add_f64_e64 v[10:11], v[2:3], -v[10:11]
	v_add_f64_e64 v[12:13], v[4:5], -v[12:13]
	;; [unrolled: 1-line block ×3, first 2 shown]
	v_add_f64_e32 v[46:47], v[52:53], v[22:23]
	v_add_f64_e32 v[50:51], v[16:17], v[24:25]
	;; [unrolled: 1-line block ×4, first 2 shown]
	v_add_f64_e64 v[18:19], v[18:19], -v[26:27]
	v_add_f64_e64 v[20:21], v[20:21], -v[28:29]
	v_add_f64_e32 v[64:65], v[30:31], v[34:35]
	v_add_f64_e32 v[66:67], v[32:33], v[36:37]
	v_add_f64_e64 v[30:31], v[34:35], -v[30:31]
	v_add_f64_e64 v[32:33], v[36:37], -v[32:33]
	;; [unrolled: 1-line block ×5, first 2 shown]
	v_add_f64_e32 v[0:1], v[56:57], v[38:39]
	v_add_f64_e32 v[2:3], v[58:59], v[54:55]
	;; [unrolled: 1-line block ×4, first 2 shown]
	v_add_f64_e64 v[14:15], v[42:43], -v[14:15]
	v_add_f64_e64 v[26:27], v[44:45], -v[40:41]
	v_add_f64_e64 v[76:77], v[12:13], -v[8:9]
	v_add_f64_e32 v[24:25], v[60:61], v[46:47]
	v_add_f64_e32 v[28:29], v[62:63], v[50:51]
	v_add_f64_e64 v[36:37], v[38:39], -v[64:65]
	v_add_f64_e64 v[40:41], v[54:55], -v[66:67]
	;; [unrolled: 1-line block ×11, first 2 shown]
	v_add_f64_e32 v[10:11], v[30:31], v[10:11]
	v_add_f64_e32 v[12:13], v[32:33], v[12:13]
	v_add_f64_e64 v[30:31], v[34:35], -v[30:31]
	v_add_f64_e64 v[32:33], v[8:9], -v[32:33]
	v_add_f64_e32 v[64:65], v[64:65], v[0:1]
	v_add_f64_e32 v[66:67], v[66:67], v[2:3]
	v_add_f64_e64 v[78:79], v[46:47], -v[4:5]
	v_add_f64_e64 v[80:81], v[50:51], -v[6:7]
	;; [unrolled: 1-line block ×6, first 2 shown]
	v_add_f64_e32 v[18:19], v[14:15], v[18:19]
	v_add_f64_e32 v[20:21], v[26:27], v[20:21]
	;; [unrolled: 1-line block ×4, first 2 shown]
	ds_load_b128 v[0:3], v148
	ds_load_b128 v[4:7], v148 offset:1904
	v_mul_f64_e32 v[96:97], s[4:5], v[76:77]
	v_mul_f64_e32 v[36:37], s[12:13], v[36:37]
	;; [unrolled: 1-line block ×7, first 2 shown]
	v_add_f64_e64 v[14:15], v[22:23], -v[14:15]
	v_add_f64_e64 v[26:27], v[16:17], -v[26:27]
	v_mul_f64_e32 v[94:95], s[4:5], v[74:75]
	v_mul_f64_e32 v[98:99], s[4:5], v[86:87]
	;; [unrolled: 1-line block ×3, first 2 shown]
	v_add_f64_e64 v[46:47], v[60:61], -v[46:47]
	v_add_f64_e64 v[50:51], v[62:63], -v[50:51]
	v_add_f64_e32 v[10:11], v[10:11], v[34:35]
	v_add_f64_e32 v[8:9], v[12:13], v[8:9]
	global_wb scope:SCOPE_SE
	s_wait_dscnt 0x0
	s_barrier_signal -1
	s_barrier_wait -1
	global_inv scope:SCOPE_SE
	v_add_f64_e32 v[0:1], v[0:1], v[64:65]
	v_add_f64_e32 v[2:3], v[2:3], v[66:67]
	v_mul_f64_e32 v[78:79], s[12:13], v[78:79]
	v_mul_f64_e32 v[80:81], s[12:13], v[80:81]
	;; [unrolled: 1-line block ×6, first 2 shown]
	v_add_f64_e32 v[12:13], v[18:19], v[22:23]
	v_add_f64_e32 v[16:17], v[20:21], v[16:17]
	;; [unrolled: 1-line block ×4, first 2 shown]
	v_fma_f64 v[18:19], v[42:43], s[0:1], v[36:37]
	v_fma_f64 v[20:21], v[44:45], s[0:1], v[40:41]
	v_fma_f64 v[22:23], v[38:39], s[16:17], -v[56:57]
	v_fma_f64 v[34:35], v[54:55], s[16:17], -v[58:59]
	v_fma_f64 v[42:43], v[30:31], s[22:23], v[48:49]
	v_fma_f64 v[44:45], v[32:33], s[22:23], v[52:53]
	v_fma_f64 v[32:33], v[32:33], s[20:21], -v[96:97]
	v_fma_f64 v[36:37], v[38:39], s[18:19], -v[36:37]
	;; [unrolled: 1-line block ×6, first 2 shown]
	v_fma_f64 v[56:57], v[64:65], s[10:11], v[0:1]
	v_fma_f64 v[58:59], v[66:67], s[10:11], v[2:3]
	;; [unrolled: 1-line block ×6, first 2 shown]
	v_fma_f64 v[74:75], v[86:87], s[4:5], -v[82:83]
	v_fma_f64 v[76:77], v[88:89], s[4:5], -v[84:85]
	;; [unrolled: 1-line block ×4, first 2 shown]
	v_fma_f64 v[24:25], v[24:25], s[10:11], v[4:5]
	v_fma_f64 v[28:29], v[28:29], s[10:11], v[6:7]
	v_fma_f64 v[78:79], v[46:47], s[18:19], -v[78:79]
	v_fma_f64 v[80:81], v[50:51], s[18:19], -v[80:81]
	;; [unrolled: 1-line block ×4, first 2 shown]
	v_fma_f64 v[42:43], v[10:11], s[24:25], v[42:43]
	v_fma_f64 v[44:45], v[8:9], s[24:25], v[44:45]
	;; [unrolled: 1-line block ×6, first 2 shown]
	v_add_f64_e32 v[60:61], v[18:19], v[56:57]
	v_add_f64_e32 v[62:63], v[20:21], v[58:59]
	;; [unrolled: 1-line block ×6, first 2 shown]
	v_fma_f64 v[56:57], v[12:13], s[24:25], v[64:65]
	v_fma_f64 v[58:59], v[16:17], s[24:25], v[66:67]
	;; [unrolled: 1-line block ×6, first 2 shown]
	v_add_f64_e32 v[82:83], v[40:41], v[24:25]
	v_add_f64_e32 v[54:55], v[54:55], v[28:29]
	;; [unrolled: 1-line block ×7, first 2 shown]
	v_add_f64_e64 v[10:11], v[62:63], -v[42:43]
	v_add_f64_e32 v[12:13], v[32:33], v[36:37]
	v_add_f64_e64 v[24:25], v[36:37], -v[32:33]
	v_add_f64_e64 v[14:15], v[38:39], -v[30:31]
	v_add_f64_e32 v[26:27], v[30:31], v[38:39]
	v_add_f64_e64 v[16:17], v[20:21], -v[52:53]
	v_add_f64_e32 v[18:19], v[48:49], v[22:23]
	v_add_f64_e32 v[30:31], v[42:43], v[62:63]
	v_add_f64_e32 v[20:21], v[52:53], v[20:21]
	v_add_f64_e64 v[22:23], v[22:23], -v[48:49]
	v_add_f64_e64 v[28:29], v[60:61], -v[44:45]
	v_add_f64_e32 v[32:33], v[58:59], v[82:83]
	v_add_f64_e64 v[34:35], v[54:55], -v[56:57]
	v_add_f64_e32 v[36:37], v[76:77], v[78:79]
	v_add_f64_e64 v[38:39], v[80:81], -v[74:75]
	v_add_f64_e64 v[40:41], v[46:47], -v[66:67]
	v_add_f64_e32 v[42:43], v[64:65], v[50:51]
	v_add_f64_e32 v[44:45], v[66:67], v[46:47]
	v_add_f64_e64 v[46:47], v[50:51], -v[64:65]
	v_add_f64_e64 v[48:49], v[78:79], -v[76:77]
	v_add_f64_e32 v[50:51], v[74:75], v[80:81]
	v_add_f64_e64 v[52:53], v[82:83], -v[58:59]
	v_add_f64_e32 v[54:55], v[56:57], v[54:55]
	ds_store_b128 v148, v[0:3]
	ds_store_b128 v148, v[4:7] offset:1904
	ds_store_b128 v148, v[8:11] offset:3808
	;; [unrolled: 1-line block ×13, first 2 shown]
	global_wb scope:SCOPE_SE
	s_wait_dscnt 0x0
	s_barrier_signal -1
	s_barrier_wait -1
	global_inv scope:SCOPE_SE
	s_and_saveexec_b32 s0, vcc_lo
	s_cbranch_execz .LBB0_23
; %bb.22:
	v_mul_lo_u32 v2, s3, v72
	v_mul_lo_u32 v3, s2, v73
	v_mad_co_u64_u32 v[0:1], null, s2, v72, 0
	v_dual_mov_b32 v71, 0 :: v_dual_add_nc_u32 v10, 0x77, v70
	v_lshlrev_b64_e32 v[8:9], 4, v[68:69]
	v_lshl_add_u32 v34, v70, 4, 0
	s_delay_alu instid0(VALU_DEP_3) | instskip(SKIP_4) | instid1(VALU_DEP_4)
	v_dual_mov_b32 v11, v71 :: v_dual_add_nc_u32 v12, 0xee, v70
	v_add3_u32 v1, v1, v3, v2
	v_lshlrev_b64_e32 v[14:15], 4, v[70:71]
	v_dual_mov_b32 v13, v71 :: v_dual_add_nc_u32 v22, 0x165, v70
	v_dual_mov_b32 v23, v71 :: v_dual_add_nc_u32 v24, 0x1dc, v70
	v_lshlrev_b64_e32 v[16:17], 4, v[0:1]
	ds_load_b128 v[0:3], v34
	ds_load_b128 v[4:7], v34 offset:1904
	v_mov_b32_e32 v25, v71
	v_lshlrev_b64_e32 v[22:23], 4, v[22:23]
	v_add_co_u32 v18, vcc_lo, s6, v16
	s_wait_alu 0xfffd
	v_add_co_ci_u32_e32 v19, vcc_lo, s7, v17, vcc_lo
	v_lshlrev_b64_e32 v[16:17], 4, v[10:11]
	s_delay_alu instid0(VALU_DEP_3) | instskip(SKIP_1) | instid1(VALU_DEP_3)
	v_add_co_u32 v36, vcc_lo, v18, v8
	s_wait_alu 0xfffd
	v_add_co_ci_u32_e32 v37, vcc_lo, v19, v9, vcc_lo
	v_lshlrev_b64_e32 v[18:19], 4, v[12:13]
	s_delay_alu instid0(VALU_DEP_3) | instskip(SKIP_1) | instid1(VALU_DEP_3)
	v_add_co_u32 v20, vcc_lo, v36, v14
	s_wait_alu 0xfffd
	v_add_co_ci_u32_e32 v21, vcc_lo, v37, v15, vcc_lo
	ds_load_b128 v[8:11], v34 offset:3808
	ds_load_b128 v[12:15], v34 offset:5712
	v_add_co_u32 v16, vcc_lo, v36, v16
	s_wait_alu 0xfffd
	v_add_co_ci_u32_e32 v17, vcc_lo, v37, v17, vcc_lo
	v_add_co_u32 v18, vcc_lo, v36, v18
	s_wait_alu 0xfffd
	v_add_co_ci_u32_e32 v19, vcc_lo, v37, v19, vcc_lo
	;; [unrolled: 3-line block ×3, first 2 shown]
	s_wait_dscnt 0x3
	global_store_b128 v[20:21], v[0:3], off
	s_wait_dscnt 0x2
	global_store_b128 v[16:17], v[4:7], off
	;; [unrolled: 2-line block ×4, first 2 shown]
	v_add_nc_u32_e32 v8, 0x253, v70
	v_lshlrev_b64_e32 v[0:1], 4, v[24:25]
	v_dual_mov_b32 v9, v71 :: v_dual_add_nc_u32 v10, 0x2ca, v70
	v_dual_mov_b32 v11, v71 :: v_dual_add_nc_u32 v22, 0x341, v70
	;; [unrolled: 1-line block ×3, first 2 shown]
	s_delay_alu instid0(VALU_DEP_4)
	v_add_co_u32 v16, vcc_lo, v36, v0
	s_wait_alu 0xfffd
	v_add_co_ci_u32_e32 v17, vcc_lo, v37, v1, vcc_lo
	ds_load_b128 v[0:3], v34 offset:7616
	ds_load_b128 v[4:7], v34 offset:9520
	v_lshlrev_b64_e32 v[18:19], 4, v[8:9]
	v_lshlrev_b64_e32 v[20:21], 4, v[10:11]
	ds_load_b128 v[8:11], v34 offset:11424
	ds_load_b128 v[12:15], v34 offset:13328
	v_lshlrev_b64_e32 v[22:23], 4, v[22:23]
	v_add_co_u32 v18, vcc_lo, v36, v18
	s_wait_alu 0xfffd
	v_add_co_ci_u32_e32 v19, vcc_lo, v37, v19, vcc_lo
	v_add_co_u32 v20, vcc_lo, v36, v20
	s_wait_alu 0xfffd
	v_add_co_ci_u32_e32 v21, vcc_lo, v37, v21, vcc_lo
	v_add_co_u32 v22, vcc_lo, v36, v22
	s_wait_dscnt 0x3
	global_store_b128 v[16:17], v[0:3], off
	s_wait_dscnt 0x2
	global_store_b128 v[18:19], v[4:7], off
	v_dual_mov_b32 v3, v71 :: v_dual_add_nc_u32 v2, 0x42f, v70
	s_wait_alu 0xfffd
	v_add_co_ci_u32_e32 v23, vcc_lo, v37, v23, vcc_lo
	v_lshlrev_b64_e32 v[0:1], 4, v[24:25]
	s_wait_dscnt 0x1
	global_store_b128 v[20:21], v[8:11], off
	s_wait_dscnt 0x0
	global_store_b128 v[22:23], v[12:15], off
	v_lshlrev_b64_e32 v[8:9], 4, v[2:3]
	v_dual_mov_b32 v11, v71 :: v_dual_add_nc_u32 v10, 0x4a6, v70
	v_add_co_u32 v24, vcc_lo, v36, v0
	s_wait_alu 0xfffd
	v_add_co_ci_u32_e32 v25, vcc_lo, v37, v1, vcc_lo
	s_delay_alu instid0(VALU_DEP_4)
	v_add_co_u32 v26, vcc_lo, v36, v8
	s_wait_alu 0xfffd
	v_add_co_ci_u32_e32 v27, vcc_lo, v37, v9, vcc_lo
	v_lshlrev_b64_e32 v[8:9], 4, v[10:11]
	v_dual_mov_b32 v17, v71 :: v_dual_add_nc_u32 v16, 0x51d, v70
	v_dual_mov_b32 v19, v71 :: v_dual_add_nc_u32 v18, 0x594, v70
	ds_load_b128 v[0:3], v34 offset:15232
	ds_load_b128 v[4:7], v34 offset:17136
	v_add_co_u32 v28, vcc_lo, v36, v8
	s_wait_alu 0xfffd
	v_add_co_ci_u32_e32 v29, vcc_lo, v37, v9, vcc_lo
	ds_load_b128 v[8:11], v34 offset:19040
	ds_load_b128 v[12:15], v34 offset:20944
	v_lshlrev_b64_e32 v[30:31], 4, v[16:17]
	v_lshlrev_b64_e32 v[32:33], 4, v[18:19]
	ds_load_b128 v[16:19], v34 offset:22848
	ds_load_b128 v[20:23], v34 offset:24752
	v_add_nc_u32_e32 v70, 0x60b, v70
	v_add_co_u32 v30, vcc_lo, v36, v30
	s_delay_alu instid0(VALU_DEP_2)
	v_lshlrev_b64_e32 v[34:35], 4, v[70:71]
	s_wait_alu 0xfffd
	v_add_co_ci_u32_e32 v31, vcc_lo, v37, v31, vcc_lo
	v_add_co_u32 v32, vcc_lo, v36, v32
	s_wait_alu 0xfffd
	v_add_co_ci_u32_e32 v33, vcc_lo, v37, v33, vcc_lo
	v_add_co_u32 v34, vcc_lo, v36, v34
	s_wait_alu 0xfffd
	v_add_co_ci_u32_e32 v35, vcc_lo, v37, v35, vcc_lo
	s_wait_dscnt 0x5
	global_store_b128 v[24:25], v[0:3], off
	s_wait_dscnt 0x4
	global_store_b128 v[26:27], v[4:7], off
	;; [unrolled: 2-line block ×6, first 2 shown]
.LBB0_23:
	s_nop 0
	s_sendmsg sendmsg(MSG_DEALLOC_VGPRS)
	s_endpgm
	.section	.rodata,"a",@progbits
	.p2align	6, 0x0
	.amdhsa_kernel fft_rtc_fwd_len1666_factors_17_2_7_7_wgs_119_tpt_119_halfLds_dp_op_CI_CI_unitstride_sbrr_C2R_dirReg
		.amdhsa_group_segment_fixed_size 0
		.amdhsa_private_segment_fixed_size 0
		.amdhsa_kernarg_size 104
		.amdhsa_user_sgpr_count 2
		.amdhsa_user_sgpr_dispatch_ptr 0
		.amdhsa_user_sgpr_queue_ptr 0
		.amdhsa_user_sgpr_kernarg_segment_ptr 1
		.amdhsa_user_sgpr_dispatch_id 0
		.amdhsa_user_sgpr_private_segment_size 0
		.amdhsa_wavefront_size32 1
		.amdhsa_uses_dynamic_stack 0
		.amdhsa_enable_private_segment 0
		.amdhsa_system_sgpr_workgroup_id_x 1
		.amdhsa_system_sgpr_workgroup_id_y 0
		.amdhsa_system_sgpr_workgroup_id_z 0
		.amdhsa_system_sgpr_workgroup_info 0
		.amdhsa_system_vgpr_workitem_id 0
		.amdhsa_next_free_vgpr 255
		.amdhsa_next_free_sgpr 56
		.amdhsa_reserve_vcc 1
		.amdhsa_float_round_mode_32 0
		.amdhsa_float_round_mode_16_64 0
		.amdhsa_float_denorm_mode_32 3
		.amdhsa_float_denorm_mode_16_64 3
		.amdhsa_fp16_overflow 0
		.amdhsa_workgroup_processor_mode 1
		.amdhsa_memory_ordered 1
		.amdhsa_forward_progress 0
		.amdhsa_round_robin_scheduling 0
		.amdhsa_exception_fp_ieee_invalid_op 0
		.amdhsa_exception_fp_denorm_src 0
		.amdhsa_exception_fp_ieee_div_zero 0
		.amdhsa_exception_fp_ieee_overflow 0
		.amdhsa_exception_fp_ieee_underflow 0
		.amdhsa_exception_fp_ieee_inexact 0
		.amdhsa_exception_int_div_zero 0
	.end_amdhsa_kernel
	.text
.Lfunc_end0:
	.size	fft_rtc_fwd_len1666_factors_17_2_7_7_wgs_119_tpt_119_halfLds_dp_op_CI_CI_unitstride_sbrr_C2R_dirReg, .Lfunc_end0-fft_rtc_fwd_len1666_factors_17_2_7_7_wgs_119_tpt_119_halfLds_dp_op_CI_CI_unitstride_sbrr_C2R_dirReg
                                        ; -- End function
	.section	.AMDGPU.csdata,"",@progbits
; Kernel info:
; codeLenInByte = 14012
; NumSgprs: 58
; NumVgprs: 255
; ScratchSize: 0
; MemoryBound: 0
; FloatMode: 240
; IeeeMode: 1
; LDSByteSize: 0 bytes/workgroup (compile time only)
; SGPRBlocks: 7
; VGPRBlocks: 31
; NumSGPRsForWavesPerEU: 58
; NumVGPRsForWavesPerEU: 255
; Occupancy: 5
; WaveLimiterHint : 1
; COMPUTE_PGM_RSRC2:SCRATCH_EN: 0
; COMPUTE_PGM_RSRC2:USER_SGPR: 2
; COMPUTE_PGM_RSRC2:TRAP_HANDLER: 0
; COMPUTE_PGM_RSRC2:TGID_X_EN: 1
; COMPUTE_PGM_RSRC2:TGID_Y_EN: 0
; COMPUTE_PGM_RSRC2:TGID_Z_EN: 0
; COMPUTE_PGM_RSRC2:TIDIG_COMP_CNT: 0
	.text
	.p2alignl 7, 3214868480
	.fill 96, 4, 3214868480
	.type	__hip_cuid_52a98439a4c30430,@object ; @__hip_cuid_52a98439a4c30430
	.section	.bss,"aw",@nobits
	.globl	__hip_cuid_52a98439a4c30430
__hip_cuid_52a98439a4c30430:
	.byte	0                               ; 0x0
	.size	__hip_cuid_52a98439a4c30430, 1

	.ident	"AMD clang version 19.0.0git (https://github.com/RadeonOpenCompute/llvm-project roc-6.4.0 25133 c7fe45cf4b819c5991fe208aaa96edf142730f1d)"
	.section	".note.GNU-stack","",@progbits
	.addrsig
	.addrsig_sym __hip_cuid_52a98439a4c30430
	.amdgpu_metadata
---
amdhsa.kernels:
  - .args:
      - .actual_access:  read_only
        .address_space:  global
        .offset:         0
        .size:           8
        .value_kind:     global_buffer
      - .offset:         8
        .size:           8
        .value_kind:     by_value
      - .actual_access:  read_only
        .address_space:  global
        .offset:         16
        .size:           8
        .value_kind:     global_buffer
      - .actual_access:  read_only
        .address_space:  global
        .offset:         24
        .size:           8
        .value_kind:     global_buffer
      - .actual_access:  read_only
        .address_space:  global
        .offset:         32
        .size:           8
        .value_kind:     global_buffer
      - .offset:         40
        .size:           8
        .value_kind:     by_value
      - .actual_access:  read_only
        .address_space:  global
        .offset:         48
        .size:           8
        .value_kind:     global_buffer
      - .actual_access:  read_only
        .address_space:  global
        .offset:         56
        .size:           8
        .value_kind:     global_buffer
      - .offset:         64
        .size:           4
        .value_kind:     by_value
      - .actual_access:  read_only
        .address_space:  global
        .offset:         72
        .size:           8
        .value_kind:     global_buffer
      - .actual_access:  read_only
        .address_space:  global
        .offset:         80
        .size:           8
        .value_kind:     global_buffer
      - .actual_access:  read_only
        .address_space:  global
        .offset:         88
        .size:           8
        .value_kind:     global_buffer
      - .actual_access:  write_only
        .address_space:  global
        .offset:         96
        .size:           8
        .value_kind:     global_buffer
    .group_segment_fixed_size: 0
    .kernarg_segment_align: 8
    .kernarg_segment_size: 104
    .language:       OpenCL C
    .language_version:
      - 2
      - 0
    .max_flat_workgroup_size: 119
    .name:           fft_rtc_fwd_len1666_factors_17_2_7_7_wgs_119_tpt_119_halfLds_dp_op_CI_CI_unitstride_sbrr_C2R_dirReg
    .private_segment_fixed_size: 0
    .sgpr_count:     58
    .sgpr_spill_count: 0
    .symbol:         fft_rtc_fwd_len1666_factors_17_2_7_7_wgs_119_tpt_119_halfLds_dp_op_CI_CI_unitstride_sbrr_C2R_dirReg.kd
    .uniform_work_group_size: 1
    .uses_dynamic_stack: false
    .vgpr_count:     255
    .vgpr_spill_count: 0
    .wavefront_size: 32
    .workgroup_processor_mode: 1
amdhsa.target:   amdgcn-amd-amdhsa--gfx1201
amdhsa.version:
  - 1
  - 2
...

	.end_amdgpu_metadata
